;; amdgpu-corpus repo=ROCm/rocFFT kind=compiled arch=gfx1201 opt=O3
	.text
	.amdgcn_target "amdgcn-amd-amdhsa--gfx1201"
	.amdhsa_code_object_version 6
	.protected	fft_rtc_back_len1936_factors_2_2_4_11_11_wgs_176_tpt_176_dp_op_CI_CI_unitstride_sbrr_R2C_dirReg ; -- Begin function fft_rtc_back_len1936_factors_2_2_4_11_11_wgs_176_tpt_176_dp_op_CI_CI_unitstride_sbrr_R2C_dirReg
	.globl	fft_rtc_back_len1936_factors_2_2_4_11_11_wgs_176_tpt_176_dp_op_CI_CI_unitstride_sbrr_R2C_dirReg
	.p2align	8
	.type	fft_rtc_back_len1936_factors_2_2_4_11_11_wgs_176_tpt_176_dp_op_CI_CI_unitstride_sbrr_R2C_dirReg,@function
fft_rtc_back_len1936_factors_2_2_4_11_11_wgs_176_tpt_176_dp_op_CI_CI_unitstride_sbrr_R2C_dirReg: ; @fft_rtc_back_len1936_factors_2_2_4_11_11_wgs_176_tpt_176_dp_op_CI_CI_unitstride_sbrr_R2C_dirReg
; %bb.0:
	s_clause 0x2
	s_load_b128 s[8:11], s[0:1], 0x0
	s_load_b128 s[4:7], s[0:1], 0x58
	;; [unrolled: 1-line block ×3, first 2 shown]
	v_mul_u32_u24_e32 v1, 0x175, v0
	v_mov_b32_e32 v3, 0
	s_delay_alu instid0(VALU_DEP_2) | instskip(NEXT) | instid1(VALU_DEP_1)
	v_lshrrev_b32_e32 v1, 16, v1
	v_add_nc_u32_e32 v5, ttmp9, v1
	v_mov_b32_e32 v1, 0
	v_mov_b32_e32 v2, 0
	;; [unrolled: 1-line block ×3, first 2 shown]
	s_wait_kmcnt 0x0
	v_cmp_lt_u64_e64 s2, s[10:11], 2
	s_delay_alu instid0(VALU_DEP_1)
	s_and_b32 vcc_lo, exec_lo, s2
	s_cbranch_vccnz .LBB0_8
; %bb.1:
	s_load_b64 s[2:3], s[0:1], 0x10
	v_mov_b32_e32 v1, 0
	v_mov_b32_e32 v2, 0
	s_add_nc_u64 s[16:17], s[14:15], 8
	s_add_nc_u64 s[18:19], s[12:13], 8
	s_mov_b64 s[20:21], 1
	s_delay_alu instid0(VALU_DEP_1)
	v_dual_mov_b32 v61, v2 :: v_dual_mov_b32 v60, v1
	s_wait_kmcnt 0x0
	s_add_nc_u64 s[22:23], s[2:3], 8
	s_mov_b32 s3, 0
.LBB0_2:                                ; =>This Inner Loop Header: Depth=1
	s_load_b64 s[24:25], s[22:23], 0x0
                                        ; implicit-def: $vgpr64_vgpr65
	s_mov_b32 s2, exec_lo
	s_wait_kmcnt 0x0
	v_or_b32_e32 v4, s25, v6
	s_delay_alu instid0(VALU_DEP_1)
	v_cmpx_ne_u64_e32 0, v[3:4]
	s_wait_alu 0xfffe
	s_xor_b32 s26, exec_lo, s2
	s_cbranch_execz .LBB0_4
; %bb.3:                                ;   in Loop: Header=BB0_2 Depth=1
	s_cvt_f32_u32 s2, s24
	s_cvt_f32_u32 s27, s25
	s_sub_nc_u64 s[30:31], 0, s[24:25]
	s_wait_alu 0xfffe
	s_delay_alu instid0(SALU_CYCLE_1) | instskip(SKIP_1) | instid1(SALU_CYCLE_2)
	s_fmamk_f32 s2, s27, 0x4f800000, s2
	s_wait_alu 0xfffe
	v_s_rcp_f32 s2, s2
	s_delay_alu instid0(TRANS32_DEP_1) | instskip(SKIP_1) | instid1(SALU_CYCLE_2)
	s_mul_f32 s2, s2, 0x5f7ffffc
	s_wait_alu 0xfffe
	s_mul_f32 s27, s2, 0x2f800000
	s_wait_alu 0xfffe
	s_delay_alu instid0(SALU_CYCLE_2) | instskip(SKIP_1) | instid1(SALU_CYCLE_2)
	s_trunc_f32 s27, s27
	s_wait_alu 0xfffe
	s_fmamk_f32 s2, s27, 0xcf800000, s2
	s_cvt_u32_f32 s29, s27
	s_wait_alu 0xfffe
	s_delay_alu instid0(SALU_CYCLE_1) | instskip(SKIP_1) | instid1(SALU_CYCLE_2)
	s_cvt_u32_f32 s28, s2
	s_wait_alu 0xfffe
	s_mul_u64 s[34:35], s[30:31], s[28:29]
	s_wait_alu 0xfffe
	s_mul_hi_u32 s37, s28, s35
	s_mul_i32 s36, s28, s35
	s_mul_hi_u32 s2, s28, s34
	s_mul_i32 s33, s29, s34
	s_wait_alu 0xfffe
	s_add_nc_u64 s[36:37], s[2:3], s[36:37]
	s_mul_hi_u32 s27, s29, s34
	s_mul_hi_u32 s38, s29, s35
	s_add_co_u32 s2, s36, s33
	s_wait_alu 0xfffe
	s_add_co_ci_u32 s2, s37, s27
	s_mul_i32 s34, s29, s35
	s_add_co_ci_u32 s35, s38, 0
	s_wait_alu 0xfffe
	s_add_nc_u64 s[34:35], s[2:3], s[34:35]
	s_wait_alu 0xfffe
	v_add_co_u32 v4, s2, s28, s34
	s_delay_alu instid0(VALU_DEP_1) | instskip(SKIP_1) | instid1(VALU_DEP_1)
	s_cmp_lg_u32 s2, 0
	s_add_co_ci_u32 s29, s29, s35
	v_readfirstlane_b32 s28, v4
	s_wait_alu 0xfffe
	s_delay_alu instid0(VALU_DEP_1)
	s_mul_u64 s[30:31], s[30:31], s[28:29]
	s_wait_alu 0xfffe
	s_mul_hi_u32 s35, s28, s31
	s_mul_i32 s34, s28, s31
	s_mul_hi_u32 s2, s28, s30
	s_mul_i32 s33, s29, s30
	s_wait_alu 0xfffe
	s_add_nc_u64 s[34:35], s[2:3], s[34:35]
	s_mul_hi_u32 s27, s29, s30
	s_mul_hi_u32 s28, s29, s31
	s_wait_alu 0xfffe
	s_add_co_u32 s2, s34, s33
	s_add_co_ci_u32 s2, s35, s27
	s_mul_i32 s30, s29, s31
	s_add_co_ci_u32 s31, s28, 0
	s_wait_alu 0xfffe
	s_add_nc_u64 s[30:31], s[2:3], s[30:31]
	s_wait_alu 0xfffe
	v_add_co_u32 v4, s2, v4, s30
	s_delay_alu instid0(VALU_DEP_1) | instskip(SKIP_1) | instid1(VALU_DEP_1)
	s_cmp_lg_u32 s2, 0
	s_add_co_ci_u32 s2, s29, s31
	v_mul_hi_u32 v13, v5, v4
	s_wait_alu 0xfffe
	v_mad_co_u64_u32 v[7:8], null, v5, s2, 0
	v_mad_co_u64_u32 v[9:10], null, v6, v4, 0
	;; [unrolled: 1-line block ×3, first 2 shown]
	s_delay_alu instid0(VALU_DEP_3) | instskip(SKIP_1) | instid1(VALU_DEP_4)
	v_add_co_u32 v4, vcc_lo, v13, v7
	s_wait_alu 0xfffd
	v_add_co_ci_u32_e32 v7, vcc_lo, 0, v8, vcc_lo
	s_delay_alu instid0(VALU_DEP_2) | instskip(SKIP_1) | instid1(VALU_DEP_2)
	v_add_co_u32 v4, vcc_lo, v4, v9
	s_wait_alu 0xfffd
	v_add_co_ci_u32_e32 v4, vcc_lo, v7, v10, vcc_lo
	s_wait_alu 0xfffd
	v_add_co_ci_u32_e32 v7, vcc_lo, 0, v12, vcc_lo
	s_delay_alu instid0(VALU_DEP_2) | instskip(SKIP_1) | instid1(VALU_DEP_2)
	v_add_co_u32 v4, vcc_lo, v4, v11
	s_wait_alu 0xfffd
	v_add_co_ci_u32_e32 v9, vcc_lo, 0, v7, vcc_lo
	s_delay_alu instid0(VALU_DEP_2) | instskip(SKIP_1) | instid1(VALU_DEP_3)
	v_mul_lo_u32 v10, s25, v4
	v_mad_co_u64_u32 v[7:8], null, s24, v4, 0
	v_mul_lo_u32 v11, s24, v9
	s_delay_alu instid0(VALU_DEP_2) | instskip(NEXT) | instid1(VALU_DEP_2)
	v_sub_co_u32 v7, vcc_lo, v5, v7
	v_add3_u32 v8, v8, v11, v10
	s_delay_alu instid0(VALU_DEP_1) | instskip(SKIP_1) | instid1(VALU_DEP_1)
	v_sub_nc_u32_e32 v10, v6, v8
	s_wait_alu 0xfffd
	v_subrev_co_ci_u32_e64 v10, s2, s25, v10, vcc_lo
	v_add_co_u32 v11, s2, v4, 2
	s_wait_alu 0xf1ff
	v_add_co_ci_u32_e64 v12, s2, 0, v9, s2
	v_sub_co_u32 v13, s2, v7, s24
	v_sub_co_ci_u32_e32 v8, vcc_lo, v6, v8, vcc_lo
	s_wait_alu 0xf1ff
	v_subrev_co_ci_u32_e64 v10, s2, 0, v10, s2
	s_delay_alu instid0(VALU_DEP_3) | instskip(NEXT) | instid1(VALU_DEP_3)
	v_cmp_le_u32_e32 vcc_lo, s24, v13
	v_cmp_eq_u32_e64 s2, s25, v8
	s_wait_alu 0xfffd
	v_cndmask_b32_e64 v13, 0, -1, vcc_lo
	v_cmp_le_u32_e32 vcc_lo, s25, v10
	s_wait_alu 0xfffd
	v_cndmask_b32_e64 v14, 0, -1, vcc_lo
	v_cmp_le_u32_e32 vcc_lo, s24, v7
	;; [unrolled: 3-line block ×3, first 2 shown]
	s_wait_alu 0xfffd
	v_cndmask_b32_e64 v15, 0, -1, vcc_lo
	v_cmp_eq_u32_e32 vcc_lo, s25, v10
	s_wait_alu 0xf1ff
	s_delay_alu instid0(VALU_DEP_2)
	v_cndmask_b32_e64 v7, v15, v7, s2
	s_wait_alu 0xfffd
	v_cndmask_b32_e32 v10, v14, v13, vcc_lo
	v_add_co_u32 v13, vcc_lo, v4, 1
	s_wait_alu 0xfffd
	v_add_co_ci_u32_e32 v14, vcc_lo, 0, v9, vcc_lo
	s_delay_alu instid0(VALU_DEP_3) | instskip(SKIP_1) | instid1(VALU_DEP_2)
	v_cmp_ne_u32_e32 vcc_lo, 0, v10
	s_wait_alu 0xfffd
	v_cndmask_b32_e32 v8, v14, v12, vcc_lo
	v_cndmask_b32_e32 v10, v13, v11, vcc_lo
	v_cmp_ne_u32_e32 vcc_lo, 0, v7
	s_wait_alu 0xfffd
	s_delay_alu instid0(VALU_DEP_2)
	v_dual_cndmask_b32 v65, v9, v8 :: v_dual_cndmask_b32 v64, v4, v10
.LBB0_4:                                ;   in Loop: Header=BB0_2 Depth=1
	s_wait_alu 0xfffe
	s_and_not1_saveexec_b32 s2, s26
	s_cbranch_execz .LBB0_6
; %bb.5:                                ;   in Loop: Header=BB0_2 Depth=1
	v_cvt_f32_u32_e32 v4, s24
	s_sub_co_i32 s26, 0, s24
	v_mov_b32_e32 v65, v3
	s_delay_alu instid0(VALU_DEP_2) | instskip(NEXT) | instid1(TRANS32_DEP_1)
	v_rcp_iflag_f32_e32 v4, v4
	v_mul_f32_e32 v4, 0x4f7ffffe, v4
	s_delay_alu instid0(VALU_DEP_1) | instskip(SKIP_1) | instid1(VALU_DEP_1)
	v_cvt_u32_f32_e32 v4, v4
	s_wait_alu 0xfffe
	v_mul_lo_u32 v7, s26, v4
	s_delay_alu instid0(VALU_DEP_1) | instskip(NEXT) | instid1(VALU_DEP_1)
	v_mul_hi_u32 v7, v4, v7
	v_add_nc_u32_e32 v4, v4, v7
	s_delay_alu instid0(VALU_DEP_1) | instskip(NEXT) | instid1(VALU_DEP_1)
	v_mul_hi_u32 v4, v5, v4
	v_mul_lo_u32 v7, v4, s24
	v_add_nc_u32_e32 v8, 1, v4
	s_delay_alu instid0(VALU_DEP_2) | instskip(NEXT) | instid1(VALU_DEP_1)
	v_sub_nc_u32_e32 v7, v5, v7
	v_subrev_nc_u32_e32 v9, s24, v7
	v_cmp_le_u32_e32 vcc_lo, s24, v7
	s_wait_alu 0xfffd
	s_delay_alu instid0(VALU_DEP_2) | instskip(NEXT) | instid1(VALU_DEP_1)
	v_dual_cndmask_b32 v7, v7, v9 :: v_dual_cndmask_b32 v4, v4, v8
	v_cmp_le_u32_e32 vcc_lo, s24, v7
	s_delay_alu instid0(VALU_DEP_2) | instskip(SKIP_1) | instid1(VALU_DEP_1)
	v_add_nc_u32_e32 v8, 1, v4
	s_wait_alu 0xfffd
	v_cndmask_b32_e32 v64, v4, v8, vcc_lo
.LBB0_6:                                ;   in Loop: Header=BB0_2 Depth=1
	s_wait_alu 0xfffe
	s_or_b32 exec_lo, exec_lo, s2
	v_mul_lo_u32 v4, v65, s24
	s_delay_alu instid0(VALU_DEP_2)
	v_mul_lo_u32 v9, v64, s25
	s_load_b64 s[26:27], s[18:19], 0x0
	v_mad_co_u64_u32 v[7:8], null, v64, s24, 0
	s_load_b64 s[24:25], s[16:17], 0x0
	s_add_nc_u64 s[20:21], s[20:21], 1
	s_add_nc_u64 s[16:17], s[16:17], 8
	s_wait_alu 0xfffe
	v_cmp_ge_u64_e64 s2, s[20:21], s[10:11]
	s_add_nc_u64 s[18:19], s[18:19], 8
	s_add_nc_u64 s[22:23], s[22:23], 8
	v_add3_u32 v4, v8, v9, v4
	v_sub_co_u32 v5, vcc_lo, v5, v7
	s_wait_alu 0xfffd
	s_delay_alu instid0(VALU_DEP_2) | instskip(SKIP_2) | instid1(VALU_DEP_1)
	v_sub_co_ci_u32_e32 v4, vcc_lo, v6, v4, vcc_lo
	s_and_b32 vcc_lo, exec_lo, s2
	s_wait_kmcnt 0x0
	v_mul_lo_u32 v6, s26, v4
	v_mul_lo_u32 v7, s27, v5
	v_mad_co_u64_u32 v[1:2], null, s26, v5, v[1:2]
	v_mul_lo_u32 v4, s24, v4
	v_mul_lo_u32 v8, s25, v5
	v_mad_co_u64_u32 v[60:61], null, s24, v5, v[60:61]
	s_delay_alu instid0(VALU_DEP_4) | instskip(NEXT) | instid1(VALU_DEP_2)
	v_add3_u32 v2, v7, v2, v6
	v_add3_u32 v61, v8, v61, v4
	s_wait_alu 0xfffe
	s_cbranch_vccnz .LBB0_9
; %bb.7:                                ;   in Loop: Header=BB0_2 Depth=1
	v_dual_mov_b32 v5, v64 :: v_dual_mov_b32 v6, v65
	s_branch .LBB0_2
.LBB0_8:
	v_dual_mov_b32 v61, v2 :: v_dual_mov_b32 v60, v1
	v_dual_mov_b32 v65, v6 :: v_dual_mov_b32 v64, v5
.LBB0_9:
	s_load_b64 s[0:1], s[0:1], 0x28
	v_mul_hi_u32 v3, 0x1745d18, v0
	s_lshl_b64 s[10:11], s[10:11], 3
                                        ; implicit-def: $vgpr62
                                        ; implicit-def: $vgpr67
                                        ; implicit-def: $vgpr71
                                        ; implicit-def: $vgpr70
                                        ; implicit-def: $vgpr69
                                        ; implicit-def: $vgpr66
	s_wait_kmcnt 0x0
	v_cmp_gt_u64_e32 vcc_lo, s[0:1], v[64:65]
	v_cmp_le_u64_e64 s0, s[0:1], v[64:65]
	s_delay_alu instid0(VALU_DEP_1)
	s_and_saveexec_b32 s1, s0
	s_wait_alu 0xfffe
	s_xor_b32 s0, exec_lo, s1
; %bb.10:
	v_mul_u32_u24_e32 v1, 0xb0, v3
                                        ; implicit-def: $vgpr3
	s_delay_alu instid0(VALU_DEP_1) | instskip(NEXT) | instid1(VALU_DEP_1)
	v_sub_nc_u32_e32 v62, v0, v1
                                        ; implicit-def: $vgpr0
                                        ; implicit-def: $vgpr1_vgpr2
	v_add_nc_u32_e32 v67, 0xb0, v62
	v_add_nc_u32_e32 v71, 0x160, v62
	v_add_nc_u32_e32 v70, 0x210, v62
	v_add_nc_u32_e32 v69, 0x2c0, v62
	v_add_nc_u32_e32 v66, 0x370, v62
; %bb.11:
	s_wait_alu 0xfffe
	s_or_saveexec_b32 s1, s0
	s_add_nc_u64 s[2:3], s[14:15], s[10:11]
	s_wait_alu 0xfffe
	s_xor_b32 exec_lo, exec_lo, s1
	s_cbranch_execz .LBB0_13
; %bb.12:
	s_add_nc_u64 s[10:11], s[12:13], s[10:11]
	v_lshlrev_b64_e32 v[1:2], 4, v[1:2]
	s_load_b64 s[10:11], s[10:11], 0x0
	s_wait_kmcnt 0x0
	v_mul_lo_u32 v6, s11, v64
	v_mul_lo_u32 v7, s10, v65
	v_mad_co_u64_u32 v[4:5], null, s10, v64, 0
	s_delay_alu instid0(VALU_DEP_1) | instskip(SKIP_1) | instid1(VALU_DEP_2)
	v_add3_u32 v5, v5, v7, v6
	v_mul_u32_u24_e32 v6, 0xb0, v3
	v_lshlrev_b64_e32 v[3:4], 4, v[4:5]
	s_delay_alu instid0(VALU_DEP_2) | instskip(NEXT) | instid1(VALU_DEP_1)
	v_sub_nc_u32_e32 v62, v0, v6
	v_lshlrev_b32_e32 v44, 4, v62
	s_delay_alu instid0(VALU_DEP_3) | instskip(SKIP_1) | instid1(VALU_DEP_4)
	v_add_co_u32 v0, s0, s4, v3
	s_wait_alu 0xf1ff
	v_add_co_ci_u32_e64 v3, s0, s5, v4, s0
	v_add_nc_u32_e32 v67, 0xb0, v62
	s_delay_alu instid0(VALU_DEP_3) | instskip(SKIP_1) | instid1(VALU_DEP_3)
	v_add_co_u32 v0, s0, v0, v1
	s_wait_alu 0xf1ff
	v_add_co_ci_u32_e64 v1, s0, v3, v2, s0
	v_add_nc_u32_e32 v71, 0x160, v62
	s_delay_alu instid0(VALU_DEP_3) | instskip(SKIP_1) | instid1(VALU_DEP_3)
	v_add_co_u32 v40, s0, v0, v44
	s_wait_alu 0xf1ff
	v_add_co_ci_u32_e64 v41, s0, 0, v1, s0
	s_clause 0xa
	global_load_b128 v[0:3], v[40:41], off
	global_load_b128 v[4:7], v[40:41], off offset:2816
	global_load_b128 v[8:11], v[40:41], off offset:5632
	;; [unrolled: 1-line block ×10, first 2 shown]
	v_add_nc_u32_e32 v44, 0, v44
	v_add_nc_u32_e32 v70, 0x210, v62
	;; [unrolled: 1-line block ×4, first 2 shown]
	s_wait_loadcnt 0xa
	ds_store_b128 v44, v[0:3]
	s_wait_loadcnt 0x9
	ds_store_b128 v44, v[4:7] offset:2816
	s_wait_loadcnt 0x8
	ds_store_b128 v44, v[8:11] offset:5632
	s_wait_loadcnt 0x7
	ds_store_b128 v44, v[12:15] offset:8448
	s_wait_loadcnt 0x6
	ds_store_b128 v44, v[16:19] offset:11264
	s_wait_loadcnt 0x5
	ds_store_b128 v44, v[20:23] offset:14080
	s_wait_loadcnt 0x4
	ds_store_b128 v44, v[24:27] offset:16896
	s_wait_loadcnt 0x3
	ds_store_b128 v44, v[28:31] offset:19712
	s_wait_loadcnt 0x2
	ds_store_b128 v44, v[32:35] offset:22528
	s_wait_loadcnt 0x1
	ds_store_b128 v44, v[36:39] offset:25344
	s_wait_loadcnt 0x0
	ds_store_b128 v44, v[40:43] offset:28160
.LBB0_13:
	s_or_b32 exec_lo, exec_lo, s1
	v_lshlrev_b32_e32 v63, 4, v62
	s_load_b64 s[2:3], s[2:3], 0x0
	global_wb scope:SCOPE_SE
	s_wait_dscnt 0x0
	s_wait_kmcnt 0x0
	s_barrier_signal -1
	s_barrier_wait -1
	v_add_nc_u32_e32 v73, 0, v63
	global_inv scope:SCOPE_SE
	v_lshl_add_u32 v48, v67, 5, 0
	v_lshl_add_u32 v75, v71, 5, 0
	;; [unrolled: 1-line block ×3, first 2 shown]
	ds_load_b128 v[0:3], v73 offset:15488
	ds_load_b128 v[4:7], v73
	ds_load_b128 v[8:11], v73 offset:2816
	ds_load_b128 v[12:15], v73 offset:18304
	;; [unrolled: 1-line block ×10, first 2 shown]
	v_lshl_add_u32 v68, v69, 5, 0
	v_cmp_gt_u32_e64 s0, 0x58, v62
	global_wb scope:SCOPE_SE
	s_wait_dscnt 0x0
	s_barrier_signal -1
	s_barrier_wait -1
	global_inv scope:SCOPE_SE
	v_add_f64_e64 v[49:50], v[4:5], -v[0:1]
	v_add_f64_e64 v[51:52], v[6:7], -v[2:3]
	v_add_f64_e64 v[53:54], v[8:9], -v[12:13]
	v_add_f64_e64 v[55:56], v[10:11], -v[14:15]
	v_add_f64_e64 v[16:17], v[20:21], -v[16:17]
	v_add_f64_e64 v[18:19], v[22:23], -v[18:19]
	v_add_f64_e64 v[28:29], v[24:25], -v[28:29]
	v_add_f64_e64 v[30:31], v[26:27], -v[30:31]
	v_add_f64_e64 v[32:33], v[36:37], -v[32:33]
	v_add_f64_e64 v[34:35], v[38:39], -v[34:35]
	v_add_f64_e64 v[0:1], v[40:41], -v[44:45]
	v_add_f64_e64 v[2:3], v[42:43], -v[46:47]
	v_fma_f64 v[4:5], v[4:5], 2.0, -v[49:50]
	v_fma_f64 v[6:7], v[6:7], 2.0, -v[51:52]
	;; [unrolled: 1-line block ×12, first 2 shown]
	v_add_nc_u32_e32 v40, v73, v63
	ds_store_b128 v40, v[4:7]
	ds_store_b128 v40, v[49:52] offset:16
	ds_store_b128 v48, v[8:11]
	ds_store_b128 v48, v[53:56] offset:16
	;; [unrolled: 2-line block ×5, first 2 shown]
	s_and_saveexec_b32 s1, s0
	s_cbranch_execz .LBB0_15
; %bb.14:
	v_lshl_add_u32 v4, v66, 5, 0
	ds_store_b128 v4, v[12:15]
	ds_store_b128 v4, v[0:3] offset:16
.LBB0_15:
	s_wait_alu 0xfffe
	s_or_b32 exec_lo, exec_lo, s1
	v_lshlrev_b32_e32 v51, 4, v67
	v_lshlrev_b32_e32 v53, 4, v71
	;; [unrolled: 1-line block ×4, first 2 shown]
	global_wb scope:SCOPE_SE
	s_wait_dscnt 0x0
	v_sub_nc_u32_e32 v16, v48, v51
	v_sub_nc_u32_e32 v17, v75, v53
	;; [unrolled: 1-line block ×4, first 2 shown]
	s_barrier_signal -1
	s_barrier_wait -1
	global_inv scope:SCOPE_SE
	ds_load_b128 v[4:7], v73
	ds_load_b128 v[8:11], v73 offset:15488
	ds_load_b128 v[24:27], v16
	ds_load_b128 v[16:19], v17
	ds_load_b128 v[40:43], v73 offset:18304
	ds_load_b128 v[32:35], v73 offset:21120
	ds_load_b128 v[28:31], v20
	ds_load_b128 v[20:23], v21
	ds_load_b128 v[44:47], v73 offset:23936
	ds_load_b128 v[36:39], v73 offset:26752
	v_lshlrev_b32_e32 v54, 1, v67
	v_lshlrev_b32_e32 v52, 1, v71
	;; [unrolled: 1-line block ×4, first 2 shown]
	v_lshl_add_u32 v74, v66, 4, 0
	s_and_saveexec_b32 s1, s0
	s_cbranch_execz .LBB0_17
; %bb.16:
	ds_load_b128 v[12:15], v74
	ds_load_b128 v[0:3], v73 offset:29568
.LBB0_17:
	s_wait_alu 0xfffe
	s_or_b32 exec_lo, exec_lo, s1
	v_and_b32_e32 v55, 1, v62
	s_delay_alu instid0(VALU_DEP_1)
	v_lshlrev_b32_e32 v56, 4, v55
	global_load_b128 v[56:59], v56, s[8:9]
	global_wb scope:SCOPE_SE
	s_wait_loadcnt_dscnt 0x0
	s_barrier_signal -1
	s_barrier_wait -1
	global_inv scope:SCOPE_SE
	v_mul_f64_e32 v[79:80], v[10:11], v[58:59]
	v_mul_f64_e32 v[81:82], v[8:9], v[58:59]
	;; [unrolled: 1-line block ×12, first 2 shown]
	v_fma_f64 v[8:9], v[8:9], v[56:57], v[79:80]
	v_fma_f64 v[10:11], v[10:11], v[56:57], -v[81:82]
	v_fma_f64 v[40:41], v[40:41], v[56:57], v[83:84]
	v_fma_f64 v[42:43], v[42:43], v[56:57], -v[85:86]
	;; [unrolled: 2-line block ×6, first 2 shown]
	v_add_f64_e64 v[32:33], v[4:5], -v[8:9]
	v_add_f64_e64 v[34:35], v[6:7], -v[10:11]
	;; [unrolled: 1-line block ×12, first 2 shown]
	v_fma_f64 v[56:57], v[4:5], 2.0, -v[32:33]
	v_fma_f64 v[58:59], v[6:7], 2.0, -v[34:35]
	;; [unrolled: 1-line block ×12, first 2 shown]
	v_lshlrev_b32_e32 v21, 1, v62
	v_and_or_b32 v22, 0x3fc, v54, v55
	v_and_or_b32 v23, 0x7fc, v52, v55
	v_sub_nc_u32_e32 v20, 0, v51
	v_sub_nc_u32_e32 v24, 0, v53
	v_and_or_b32 v21, 0x1fc, v21, v55
	v_and_or_b32 v29, 0x7fc, v50, v55
	;; [unrolled: 1-line block ×3, first 2 shown]
	v_lshl_add_u32 v22, v22, 4, 0
	v_lshl_add_u32 v23, v23, 4, 0
	;; [unrolled: 1-line block ×5, first 2 shown]
	ds_store_b128 v21, v[56:59]
	ds_store_b128 v21, v[32:35] offset:32
	ds_store_b128 v22, v[79:82]
	ds_store_b128 v22, v[36:39] offset:32
	;; [unrolled: 2-line block ×5, first 2 shown]
	s_and_saveexec_b32 s1, s0
	s_cbranch_execz .LBB0_19
; %bb.18:
	v_lshlrev_b32_e32 v16, 1, v66
	s_delay_alu instid0(VALU_DEP_1) | instskip(NEXT) | instid1(VALU_DEP_1)
	v_and_or_b32 v16, 0x7fc, v16, v55
	v_lshl_add_u32 v16, v16, 4, 0
	ds_store_b128 v16, v[12:15]
	ds_store_b128 v16, v[8:11] offset:32
.LBB0_19:
	s_wait_alu 0xfffe
	s_or_b32 exec_lo, exec_lo, s1
	v_add_nc_u32_e32 v76, v48, v20
	global_wb scope:SCOPE_SE
	s_wait_dscnt 0x0
	s_barrier_signal -1
	s_barrier_wait -1
	global_inv scope:SCOPE_SE
	ds_load_b128 v[16:19], v73
	ds_load_b128 v[36:39], v73 offset:7744
	ds_load_b128 v[52:55], v73 offset:15488
	;; [unrolled: 1-line block ×5, first 2 shown]
	ds_load_b128 v[20:23], v76
	ds_load_b128 v[48:51], v73 offset:26048
	v_cmp_gt_u32_e64 s1, 0x84, v62
	v_add_nc_u32_e32 v75, v75, v24
	s_delay_alu instid0(VALU_DEP_2)
	s_and_saveexec_b32 s4, s1
	s_cbranch_execz .LBB0_21
; %bb.20:
	ds_load_b128 v[0:3], v73 offset:13376
	ds_load_b128 v[12:15], v73 offset:21120
	ds_load_b128 v[4:7], v75
	ds_load_b128 v[8:11], v73 offset:28864
.LBB0_21:
	s_wait_alu 0xfffe
	s_or_b32 exec_lo, exec_lo, s4
	v_and_b32_e32 v79, 3, v62
	s_delay_alu instid0(VALU_DEP_1) | instskip(NEXT) | instid1(VALU_DEP_1)
	v_mul_u32_u24_e32 v24, 3, v79
	v_lshlrev_b32_e32 v24, 4, v24
	s_clause 0x2
	global_load_b128 v[32:35], v24, s[8:9] offset:32
	global_load_b128 v[28:31], v24, s[8:9] offset:48
	;; [unrolled: 1-line block ×3, first 2 shown]
	global_wb scope:SCOPE_SE
	s_wait_loadcnt_dscnt 0x0
	s_barrier_signal -1
	s_barrier_wait -1
	global_inv scope:SCOPE_SE
	v_mul_f64_e32 v[80:81], v[38:39], v[34:35]
	v_mul_f64_e32 v[82:83], v[36:37], v[34:35]
	;; [unrolled: 1-line block ×12, first 2 shown]
	v_fma_f64 v[36:37], v[36:37], v[32:33], v[80:81]
	v_fma_f64 v[38:39], v[38:39], v[32:33], -v[82:83]
	v_fma_f64 v[52:53], v[52:53], v[28:29], v[84:85]
	v_fma_f64 v[54:55], v[54:55], v[28:29], -v[86:87]
	v_fma_f64 v[56:57], v[56:57], v[24:25], v[88:89]
	v_fma_f64 v[58:59], v[58:59], v[24:25], -v[90:91]
	v_fma_f64 v[40:41], v[40:41], v[32:33], v[92:93]
	v_fma_f64 v[42:43], v[42:43], v[32:33], -v[94:95]
	v_fma_f64 v[44:45], v[44:45], v[28:29], v[96:97]
	v_fma_f64 v[46:47], v[46:47], v[28:29], -v[98:99]
	v_fma_f64 v[48:49], v[48:49], v[24:25], v[100:101]
	v_fma_f64 v[50:51], v[50:51], v[24:25], -v[102:103]
	v_add_f64_e64 v[52:53], v[16:17], -v[52:53]
	v_add_f64_e64 v[54:55], v[18:19], -v[54:55]
	;; [unrolled: 1-line block ×8, first 2 shown]
	v_fma_f64 v[16:17], v[16:17], 2.0, -v[52:53]
	v_fma_f64 v[82:83], v[18:19], 2.0, -v[54:55]
	;; [unrolled: 1-line block ×4, first 2 shown]
	v_add_f64_e32 v[18:19], v[52:53], v[58:59]
	v_fma_f64 v[86:87], v[20:21], 2.0, -v[80:81]
	v_fma_f64 v[22:23], v[22:23], 2.0, -v[84:85]
	;; [unrolled: 1-line block ×4, first 2 shown]
	v_add_f64_e64 v[20:21], v[54:55], -v[56:57]
	v_add_f64_e32 v[36:37], v[80:81], v[44:45]
	v_add_f64_e64 v[40:41], v[16:17], -v[46:47]
	v_add_f64_e64 v[42:43], v[82:83], -v[38:39]
	;; [unrolled: 1-line block ×3, first 2 shown]
	v_fma_f64 v[48:49], v[52:53], 2.0, -v[18:19]
	v_add_f64_e64 v[44:45], v[86:87], -v[50:51]
	v_add_f64_e64 v[46:47], v[22:23], -v[88:89]
	v_fma_f64 v[50:51], v[54:55], 2.0, -v[20:21]
	v_fma_f64 v[52:53], v[80:81], 2.0, -v[36:37]
	;; [unrolled: 1-line block ×5, first 2 shown]
	v_lshlrev_b32_e32 v16, 2, v62
	v_lshlrev_b32_e32 v17, 2, v67
	v_fma_f64 v[80:81], v[86:87], 2.0, -v[44:45]
	v_fma_f64 v[82:83], v[22:23], 2.0, -v[46:47]
	s_delay_alu instid0(VALU_DEP_4) | instskip(NEXT) | instid1(VALU_DEP_4)
	v_and_or_b32 v22, 0x3f0, v16, v79
	v_and_or_b32 v23, 0x7f0, v17, v79
	v_sub_nc_u32_e32 v17, 0, v77
	v_sub_nc_u32_e32 v16, 0, v78
	s_delay_alu instid0(VALU_DEP_4) | instskip(NEXT) | instid1(VALU_DEP_4)
	v_lshl_add_u32 v22, v22, 4, 0
	v_lshl_add_u32 v23, v23, 4, 0
	ds_store_b128 v22, v[40:43] offset:128
	ds_store_b128 v22, v[18:21] offset:192
	ds_store_b128 v22, v[56:59]
	ds_store_b128 v22, v[48:51] offset:64
	ds_store_b128 v23, v[80:83]
	ds_store_b128 v23, v[52:55] offset:64
	ds_store_b128 v23, v[44:47] offset:128
	ds_store_b128 v23, v[36:39] offset:192
	s_and_saveexec_b32 s4, s1
	s_cbranch_execz .LBB0_23
; %bb.22:
	v_mul_f64_e32 v[18:19], v[12:13], v[30:31]
	v_mul_f64_e32 v[20:21], v[2:3], v[34:35]
	v_mul_f64_e32 v[22:23], v[0:1], v[34:35]
	v_mul_f64_e32 v[34:35], v[8:9], v[26:27]
	v_mul_f64_e32 v[30:31], v[14:15], v[30:31]
	v_mul_f64_e32 v[26:27], v[10:11], v[26:27]
	v_fma_f64 v[14:15], v[14:15], v[28:29], -v[18:19]
	v_fma_f64 v[0:1], v[0:1], v[32:33], v[20:21]
	v_fma_f64 v[2:3], v[2:3], v[32:33], -v[22:23]
	v_fma_f64 v[10:11], v[10:11], v[24:25], -v[34:35]
	v_fma_f64 v[12:13], v[12:13], v[28:29], v[30:31]
	v_fma_f64 v[8:9], v[8:9], v[24:25], v[26:27]
	v_add_f64_e64 v[14:15], v[6:7], -v[14:15]
	s_delay_alu instid0(VALU_DEP_4) | instskip(NEXT) | instid1(VALU_DEP_4)
	v_add_f64_e64 v[10:11], v[2:3], -v[10:11]
	v_add_f64_e64 v[18:19], v[4:5], -v[12:13]
	s_delay_alu instid0(VALU_DEP_4) | instskip(NEXT) | instid1(VALU_DEP_4)
	v_add_f64_e64 v[8:9], v[0:1], -v[8:9]
	v_fma_f64 v[12:13], v[6:7], 2.0, -v[14:15]
	s_delay_alu instid0(VALU_DEP_4) | instskip(NEXT) | instid1(VALU_DEP_4)
	v_fma_f64 v[6:7], v[2:3], 2.0, -v[10:11]
	v_fma_f64 v[20:21], v[4:5], 2.0, -v[18:19]
	s_delay_alu instid0(VALU_DEP_4) | instskip(SKIP_1) | instid1(VALU_DEP_4)
	v_fma_f64 v[0:1], v[0:1], 2.0, -v[8:9]
	v_add_f64_e64 v[2:3], v[14:15], -v[8:9]
	v_add_f64_e64 v[6:7], v[12:13], -v[6:7]
	s_delay_alu instid0(VALU_DEP_3) | instskip(SKIP_1) | instid1(VALU_DEP_4)
	v_add_f64_e64 v[4:5], v[20:21], -v[0:1]
	v_add_f64_e32 v[0:1], v[18:19], v[10:11]
	v_fma_f64 v[10:11], v[14:15], 2.0, -v[2:3]
	s_delay_alu instid0(VALU_DEP_4) | instskip(NEXT) | instid1(VALU_DEP_4)
	v_fma_f64 v[14:15], v[12:13], 2.0, -v[6:7]
	v_fma_f64 v[12:13], v[20:21], 2.0, -v[4:5]
	s_delay_alu instid0(VALU_DEP_4) | instskip(SKIP_1) | instid1(VALU_DEP_1)
	v_fma_f64 v[8:9], v[18:19], 2.0, -v[0:1]
	v_lshlrev_b32_e32 v18, 2, v71
	v_and_or_b32 v18, 0xff0, v18, v79
	s_delay_alu instid0(VALU_DEP_1)
	v_lshl_add_u32 v18, v18, 4, 0
	ds_store_b128 v18, v[12:15]
	ds_store_b128 v18, v[8:11] offset:64
	ds_store_b128 v18, v[4:7] offset:128
	;; [unrolled: 1-line block ×3, first 2 shown]
.LBB0_23:
	s_wait_alu 0xfffe
	s_or_b32 exec_lo, exec_lo, s4
	v_and_b32_e32 v22, 15, v62
	global_wb scope:SCOPE_SE
	s_wait_dscnt 0x0
	s_barrier_signal -1
	s_barrier_wait -1
	global_inv scope:SCOPE_SE
	v_mul_u32_u24_e32 v0, 10, v22
	v_add_nc_u32_e32 v21, v72, v17
	v_add_nc_u32_e32 v20, v68, v16
	s_mov_b32 s4, 0xf8bb580b
	s_mov_b32 s18, 0x8764f0ba
	v_lshlrev_b32_e32 v4, 4, v0
	s_mov_b32 s12, 0x8eee2c13
	s_mov_b32 s16, 0xd9c712b6
	;; [unrolled: 1-line block ×4, first 2 shown]
	s_clause 0x9
	global_load_b128 v[0:3], v4, s[8:9] offset:224
	global_load_b128 v[6:9], v4, s[8:9] offset:368
	;; [unrolled: 1-line block ×10, first 2 shown]
	ds_load_b128 v[51:54], v76
	ds_load_b128 v[55:58], v21
	ds_load_b128 v[77:80], v73 offset:28160
	ds_load_b128 v[81:84], v75
	ds_load_b128 v[85:88], v73 offset:25344
	ds_load_b128 v[14:17], v73 offset:22528
	ds_load_b128 v[89:92], v20
	ds_load_b128 v[93:96], v74
	ds_load_b128 v[97:100], v73 offset:19712
	ds_load_b128 v[101:104], v73 offset:16896
	s_mov_b32 s13, 0xbfed1bb4
	s_mov_b32 s17, 0x3fda9628
	;; [unrolled: 1-line block ×18, first 2 shown]
	s_wait_alu 0xfffe
	s_mov_b32 s10, s4
	s_mov_b32 s14, s12
	;; [unrolled: 1-line block ×6, first 2 shown]
	s_wait_loadcnt_dscnt 0x909
	v_mul_f64_e32 v[4:5], v[53:54], v[2:3]
	v_mul_f64_e32 v[2:3], v[51:52], v[2:3]
	s_wait_loadcnt_dscnt 0x807
	v_mul_f64_e32 v[18:19], v[77:78], v[8:9]
	s_wait_loadcnt_dscnt 0x706
	;; [unrolled: 2-line block ×3, first 2 shown]
	v_mul_f64_e32 v[107:108], v[85:86], v[25:26]
	v_mul_f64_e32 v[12:13], v[83:84], v[12:13]
	;; [unrolled: 1-line block ×3, first 2 shown]
	s_wait_loadcnt 0x5
	v_mul_f64_e32 v[111:112], v[55:56], v[29:30]
	s_wait_loadcnt_dscnt 0x404
	v_mul_f64_e32 v[113:114], v[14:15], v[33:34]
	v_mul_f64_e32 v[25:26], v[87:88], v[25:26]
	;; [unrolled: 1-line block ×4, first 2 shown]
	s_wait_loadcnt_dscnt 0x101
	v_mul_f64_e32 v[119:120], v[97:98], v[45:46]
	v_mul_f64_e32 v[45:46], v[99:100], v[45:46]
	;; [unrolled: 1-line block ×6, first 2 shown]
	v_fma_f64 v[51:52], v[51:52], v[0:1], v[4:5]
	v_fma_f64 v[53:54], v[53:54], v[0:1], -v[2:3]
	ds_load_b128 v[0:3], v73
	v_fma_f64 v[4:5], v[79:80], v[6:7], -v[18:19]
	v_fma_f64 v[79:80], v[83:84], v[10:11], -v[105:106]
	;; [unrolled: 1-line block ×3, first 2 shown]
	v_fma_f64 v[81:82], v[81:82], v[10:11], v[12:13]
	v_fma_f64 v[57:58], v[57:58], v[27:28], -v[111:112]
	v_fma_f64 v[12:13], v[16:17], v[31:32], -v[113:114]
	v_fma_f64 v[10:11], v[85:86], v[23:24], v[25:26]
	v_fma_f64 v[23:24], v[55:56], v[27:28], v[29:30]
	v_fma_f64 v[14:15], v[14:15], v[31:32], v[33:34]
	v_fma_f64 v[16:17], v[99:100], v[43:44], -v[119:120]
	v_fma_f64 v[18:19], v[97:98], v[43:44], v[45:46]
	s_wait_loadcnt_dscnt 0x1
	v_mul_f64_e32 v[121:122], v[103:104], v[49:50]
	v_mul_f64_e32 v[49:50], v[101:102], v[49:50]
	v_fma_f64 v[6:7], v[77:78], v[6:7], v[109:110]
	v_fma_f64 v[27:28], v[91:92], v[35:36], -v[37:38]
	v_fma_f64 v[29:30], v[93:94], v[39:40], v[117:118]
	v_fma_f64 v[31:32], v[95:96], v[39:40], -v[41:42]
	v_fma_f64 v[25:26], v[89:90], v[35:36], v[115:116]
	global_wb scope:SCOPE_SE
	s_wait_dscnt 0x0
	s_barrier_signal -1
	s_barrier_wait -1
	global_inv scope:SCOPE_SE
	v_add_f64_e32 v[83:84], v[0:1], v[51:52]
	v_add_f64_e32 v[87:88], v[2:3], v[53:54]
	v_add_f64_e64 v[37:38], v[53:54], -v[4:5]
	v_add_f64_e32 v[39:40], v[53:54], v[4:5]
	v_add_f64_e64 v[41:42], v[79:80], -v[8:9]
	;; [unrolled: 2-line block ×3, first 2 shown]
	v_fma_f64 v[33:34], v[101:102], v[47:48], v[121:122]
	v_fma_f64 v[35:36], v[103:104], v[47:48], -v[49:50]
	v_add_f64_e32 v[47:48], v[79:80], v[8:9]
	v_add_f64_e64 v[49:50], v[57:58], -v[12:13]
	v_add_f64_e32 v[53:54], v[51:52], v[6:7]
	v_add_f64_e64 v[51:52], v[51:52], -v[6:7]
	v_add_f64_e64 v[85:86], v[27:28], -v[16:17]
	v_add_f64_e32 v[97:98], v[27:28], v[16:17]
	v_add_f64_e64 v[99:100], v[25:26], -v[18:19]
	v_add_f64_e32 v[43:44], v[83:84], v[81:82]
	v_add_f64_e32 v[45:46], v[87:88], v[79:80]
	;; [unrolled: 1-line block ×3, first 2 shown]
	v_add_f64_e64 v[83:84], v[23:24], -v[14:15]
	v_mul_f64_e32 v[101:102], s[4:5], v[37:38]
	v_mul_f64_e32 v[103:104], s[18:19], v[39:40]
	;; [unrolled: 1-line block ×10, first 2 shown]
	v_add_f64_e32 v[79:80], v[57:58], v[12:13]
	v_mul_f64_e32 v[117:118], s[12:13], v[41:42]
	v_mul_f64_e32 v[119:120], s[24:25], v[41:42]
	;; [unrolled: 1-line block ×11, first 2 shown]
	v_add_f64_e32 v[87:88], v[25:26], v[18:19]
	v_add_f64_e32 v[89:90], v[29:30], v[33:34]
	v_add_f64_e64 v[91:92], v[29:30], -v[33:34]
	v_add_f64_e32 v[93:94], v[31:32], v[35:36]
	v_add_f64_e64 v[95:96], v[31:32], -v[35:36]
	v_mul_f64_e32 v[145:146], s[24:25], v[85:86]
	v_mul_f64_e32 v[147:148], s[22:23], v[85:86]
	;; [unrolled: 1-line block ×7, first 2 shown]
	v_add_f64_e32 v[23:24], v[43:44], v[23:24]
	v_add_f64_e32 v[45:46], v[45:46], v[57:58]
	v_mul_f64_e32 v[43:44], s[22:23], v[41:42]
	s_wait_alu 0xfffe
	v_mul_f64_e32 v[41:42], s[10:11], v[41:42]
	v_mul_f64_e32 v[57:58], s[16:17], v[47:48]
	v_mul_f64_e32 v[47:48], s[18:19], v[47:48]
	v_fma_f64 v[161:162], v[53:54], s[18:19], v[101:102]
	v_fma_f64 v[163:164], v[51:52], s[10:11], v[103:104]
	v_fma_f64 v[101:102], v[53:54], s[18:19], -v[101:102]
	v_fma_f64 v[103:104], v[51:52], s[4:5], v[103:104]
	v_fma_f64 v[165:166], v[53:54], s[16:17], v[105:106]
	v_fma_f64 v[167:168], v[51:52], s[14:15], v[107:108]
	v_fma_f64 v[105:106], v[53:54], s[16:17], -v[105:106]
	v_fma_f64 v[169:170], v[53:54], s[26:27], v[109:110]
	v_fma_f64 v[171:172], v[51:52], s[28:29], v[115:116]
	v_fma_f64 v[173:174], v[53:54], s[38:39], v[37:38]
	v_fma_f64 v[37:38], v[53:54], s[38:39], -v[37:38]
	v_fma_f64 v[107:108], v[51:52], s[12:13], v[107:108]
	v_fma_f64 v[115:116], v[51:52], s[24:25], v[115:116]
	v_mul_f64_e32 v[137:138], s[26:27], v[79:80]
	v_mul_f64_e32 v[139:140], s[38:39], v[79:80]
	v_fma_f64 v[175:176], v[55:56], s[34:35], v[119:120]
	v_fma_f64 v[119:120], v[55:56], s[34:35], -v[119:120]
	v_fma_f64 v[177:178], v[55:56], s[38:39], v[121:122]
	v_fma_f64 v[121:122], v[55:56], s[38:39], -v[121:122]
	v_fma_f64 v[183:184], v[77:78], s[28:29], v[123:124]
	v_fma_f64 v[123:124], v[77:78], s[24:25], v[123:124]
	;; [unrolled: 1-line block ×7, first 2 shown]
	v_fma_f64 v[131:132], v[81:82], s[38:39], -v[131:132]
	v_fma_f64 v[193:194], v[81:82], s[16:17], v[133:134]
	v_mul_f64_e32 v[141:142], s[16:17], v[79:80]
	v_mul_f64_e32 v[143:144], s[18:19], v[79:80]
	;; [unrolled: 1-line block ×4, first 2 shown]
	v_add_f64_e32 v[23:24], v[23:24], v[25:26]
	v_add_f64_e32 v[27:28], v[45:46], v[27:28]
	v_fma_f64 v[25:26], v[51:52], s[22:23], v[111:112]
	v_fma_f64 v[45:46], v[53:54], s[26:27], -v[109:110]
	v_fma_f64 v[109:110], v[51:52], s[20:21], v[111:112]
	v_fma_f64 v[111:112], v[53:54], s[34:35], v[113:114]
	v_fma_f64 v[113:114], v[53:54], s[34:35], -v[113:114]
	v_fma_f64 v[53:54], v[51:52], s[36:37], v[39:40]
	v_fma_f64 v[39:40], v[51:52], s[30:31], v[39:40]
	;; [unrolled: 1-line block ×3, first 2 shown]
	v_fma_f64 v[117:118], v[55:56], s[16:17], -v[117:118]
	v_fma_f64 v[179:180], v[55:56], s[26:27], v[43:44]
	v_fma_f64 v[43:44], v[55:56], s[26:27], -v[43:44]
	v_fma_f64 v[181:182], v[55:56], s[18:19], v[41:42]
	;; [unrolled: 2-line block ×3, first 2 shown]
	v_fma_f64 v[57:58], v[77:78], s[12:13], v[57:58]
	v_fma_f64 v[189:190], v[77:78], s[4:5], v[47:48]
	;; [unrolled: 1-line block ×4, first 2 shown]
	v_fma_f64 v[129:130], v[81:82], s[26:27], -v[129:130]
	v_add_f64_e32 v[101:102], v[0:1], v[101:102]
	v_add_f64_e32 v[165:166], v[0:1], v[165:166]
	;; [unrolled: 1-line block ×10, first 2 shown]
	v_fma_f64 v[195:196], v[83:84], s[30:31], v[139:140]
	v_mul_f64_e32 v[159:160], s[38:39], v[97:98]
	v_mul_f64_e32 v[97:98], s[16:17], v[97:98]
	v_fma_f64 v[197:198], v[83:84], s[12:13], v[141:142]
	v_fma_f64 v[141:142], v[83:84], s[14:15], v[141:142]
	;; [unrolled: 1-line block ×3, first 2 shown]
	v_add_f64_e32 v[23:24], v[23:24], v[29:30]
	v_add_f64_e32 v[27:28], v[27:28], v[31:32]
	v_fma_f64 v[29:30], v[81:82], s[16:17], -v[133:134]
	v_fma_f64 v[31:32], v[81:82], s[18:19], v[135:136]
	v_add_f64_e32 v[133:134], v[0:1], v[161:162]
	v_fma_f64 v[135:136], v[81:82], s[18:19], -v[135:136]
	v_fma_f64 v[161:162], v[81:82], s[34:35], v[49:50]
	v_fma_f64 v[49:50], v[81:82], s[34:35], -v[49:50]
	v_add_f64_e32 v[81:82], v[2:3], v[103:104]
	v_add_f64_e32 v[25:26], v[2:3], v[25:26]
	;; [unrolled: 1-line block ×9, first 2 shown]
	v_fma_f64 v[103:104], v[83:84], s[22:23], v[137:138]
	v_fma_f64 v[137:138], v[83:84], s[20:21], v[137:138]
	;; [unrolled: 1-line block ×4, first 2 shown]
	v_add_f64_e32 v[101:102], v[117:118], v[101:102]
	v_add_f64_e32 v[165:166], v[175:176], v[165:166]
	;; [unrolled: 1-line block ×6, first 2 shown]
	v_fma_f64 v[143:144], v[83:84], s[28:29], v[79:80]
	v_fma_f64 v[79:80], v[83:84], s[24:25], v[79:80]
	v_add_f64_e32 v[107:108], v[123:124], v[107:108]
	v_add_f64_e32 v[55:56], v[55:56], v[163:164]
	v_mul_f64_e32 v[83:84], s[30:31], v[95:96]
	v_mul_f64_e32 v[117:118], s[38:39], v[93:94]
	v_mul_f64_e32 v[175:176], s[34:35], v[93:94]
	v_mul_f64_e32 v[183:184], s[16:17], v[93:94]
	v_fma_f64 v[119:120], v[87:88], s[34:35], v[145:146]
	v_fma_f64 v[145:146], v[87:88], s[34:35], -v[145:146]
	v_fma_f64 v[177:178], v[87:88], s[26:27], v[147:148]
	v_add_f64_e32 v[23:24], v[23:24], v[33:34]
	v_add_f64_e32 v[27:28], v[27:28], v[35:36]
	v_mul_f64_e32 v[33:34], s[10:11], v[95:96]
	v_mul_f64_e32 v[35:36], s[24:25], v[95:96]
	v_add_f64_e32 v[51:52], v[51:52], v[133:134]
	v_mul_f64_e32 v[133:134], s[14:15], v[95:96]
	v_mul_f64_e32 v[95:96], s[20:21], v[95:96]
	v_fma_f64 v[147:148], v[87:88], s[26:27], -v[147:148]
	v_add_f64_e32 v[57:58], v[57:58], v[81:82]
	v_add_f64_e32 v[25:26], v[185:186], v[25:26]
	;; [unrolled: 1-line block ×11, first 2 shown]
	v_mul_f64_e32 v[81:82], s[18:19], v[93:94]
	v_mul_f64_e32 v[93:94], s[26:27], v[93:94]
	v_fma_f64 v[185:186], v[87:88], s[18:19], v[149:150]
	v_fma_f64 v[149:150], v[87:88], s[18:19], -v[149:150]
	v_fma_f64 v[121:122], v[87:88], s[38:39], v[151:152]
	v_fma_f64 v[151:152], v[87:88], s[38:39], -v[151:152]
	v_fma_f64 v[109:110], v[99:100], s[20:21], v[155:156]
	v_fma_f64 v[123:124], v[99:100], s[10:11], v[157:158]
	v_add_f64_e32 v[105:106], v[131:132], v[105:106]
	v_add_f64_e32 v[131:132], v[193:194], v[169:170]
	v_fma_f64 v[127:128], v[99:100], s[36:37], v[159:160]
	v_add_f64_e32 v[37:38], v[37:38], v[171:172]
	v_fma_f64 v[115:116], v[99:100], s[22:23], v[155:156]
	v_fma_f64 v[155:156], v[99:100], s[12:13], v[97:98]
	;; [unrolled: 1-line block ×4, first 2 shown]
	v_add_f64_e32 v[18:19], v[23:24], v[18:19]
	v_add_f64_e32 v[16:17], v[27:28], v[16:17]
	v_fma_f64 v[23:24], v[87:88], s[16:17], v[85:86]
	v_fma_f64 v[27:28], v[87:88], s[16:17], -v[85:86]
	v_fma_f64 v[87:88], v[99:100], s[24:25], v[153:154]
	v_add_f64_e32 v[51:52], v[77:78], v[51:52]
	v_add_f64_e32 v[77:78], v[129:130], v[101:102]
	;; [unrolled: 1-line block ×13, first 2 shown]
	v_fma_f64 v[85:86], v[99:100], s[28:29], v[153:154]
	v_fma_f64 v[153:154], v[99:100], s[30:31], v[159:160]
	v_add_f64_e32 v[39:40], v[39:40], v[41:42]
	v_add_f64_e32 v[41:42], v[141:142], v[47:48]
	;; [unrolled: 1-line block ×4, first 2 shown]
	v_fma_f64 v[99:100], v[89:90], s[38:39], v[83:84]
	v_fma_f64 v[83:84], v[89:90], s[38:39], -v[83:84]
	v_fma_f64 v[157:158], v[89:90], s[18:19], v[33:34]
	v_fma_f64 v[33:34], v[89:90], s[18:19], -v[33:34]
	;; [unrolled: 2-line block ×3, first 2 shown]
	v_fma_f64 v[103:104], v[89:90], s[26:27], v[95:96]
	v_fma_f64 v[107:108], v[91:92], s[4:5], v[81:82]
	;; [unrolled: 1-line block ×7, first 2 shown]
	v_add_f64_e32 v[37:38], v[127:128], v[37:38]
	v_add_f64_e32 v[14:15], v[18:19], v[14:15]
	;; [unrolled: 1-line block ×3, first 2 shown]
	v_fma_f64 v[18:19], v[89:90], s[34:35], v[35:36]
	v_fma_f64 v[35:36], v[89:90], s[34:35], -v[35:36]
	v_fma_f64 v[89:90], v[89:90], s[26:27], -v[95:96]
	v_fma_f64 v[95:96], v[91:92], s[36:37], v[117:118]
	v_fma_f64 v[16:17], v[91:92], s[30:31], v[117:118]
	;; [unrolled: 1-line block ×4, first 2 shown]
	v_add_f64_e32 v[57:58], v[87:88], v[57:58]
	v_add_f64_e32 v[87:88], v[177:178], v[101:102]
	;; [unrolled: 1-line block ×43, first 2 shown]
	v_lshrrev_b32_e32 v4, 4, v62
	v_mul_u32_u24_e32 v5, 10, v62
	s_delay_alu instid0(VALU_DEP_2) | instskip(NEXT) | instid1(VALU_DEP_2)
	v_mul_u32_u24_e32 v4, 0xb0, v4
	v_lshlrev_b32_e32 v5, 4, v5
	s_delay_alu instid0(VALU_DEP_2) | instskip(NEXT) | instid1(VALU_DEP_1)
	v_or_b32_e32 v4, v4, v22
	v_lshl_add_u32 v4, v4, 4, 0
	ds_store_b128 v4, v[12:15] offset:512
	ds_store_b128 v4, v[23:26] offset:768
	;; [unrolled: 1-line block ×10, first 2 shown]
	ds_store_b128 v4, v[47:50]
	global_wb scope:SCOPE_SE
	s_wait_dscnt 0x0
	s_barrier_signal -1
	s_barrier_wait -1
	global_inv scope:SCOPE_SE
	s_clause 0x9
	global_load_b128 v[0:3], v5, s[8:9] offset:2784
	global_load_b128 v[8:11], v5, s[8:9] offset:2928
	;; [unrolled: 1-line block ×10, first 2 shown]
	ds_load_b128 v[4:7], v76
	ds_load_b128 v[46:49], v21
	ds_load_b128 v[50:53], v73 offset:28160
	ds_load_b128 v[54:57], v75
	ds_load_b128 v[77:80], v73 offset:25344
	ds_load_b128 v[81:84], v73 offset:22528
	ds_load_b128 v[85:88], v20
	ds_load_b128 v[89:92], v74
	ds_load_b128 v[93:96], v73 offset:19712
	ds_load_b128 v[97:100], v73 offset:16896
	s_wait_loadcnt_dscnt 0x909
	v_mul_f64_e32 v[58:59], v[6:7], v[2:3]
	v_mul_f64_e32 v[2:3], v[4:5], v[2:3]
	s_wait_loadcnt_dscnt 0x807
	v_mul_f64_e32 v[101:102], v[50:51], v[10:11]
	s_wait_loadcnt_dscnt 0x706
	;; [unrolled: 2-line block ×3, first 2 shown]
	v_mul_f64_e32 v[105:106], v[77:78], v[18:19]
	v_mul_f64_e32 v[14:15], v[56:57], v[14:15]
	s_wait_loadcnt 0x5
	v_mul_f64_e32 v[109:110], v[46:47], v[24:25]
	s_wait_loadcnt_dscnt 0x404
	v_mul_f64_e32 v[111:112], v[81:82], v[28:29]
	v_mul_f64_e32 v[10:11], v[52:53], v[10:11]
	;; [unrolled: 1-line block ×4, first 2 shown]
	s_wait_loadcnt_dscnt 0x303
	v_mul_f64_e32 v[113:114], v[87:88], v[32:33]
	v_mul_f64_e32 v[32:33], v[85:86], v[32:33]
	;; [unrolled: 1-line block ×3, first 2 shown]
	s_wait_loadcnt_dscnt 0x202
	v_mul_f64_e32 v[115:116], v[91:92], v[36:37]
	v_mul_f64_e32 v[36:37], v[89:90], v[36:37]
	s_wait_loadcnt_dscnt 0x101
	v_mul_f64_e32 v[117:118], v[93:94], v[40:41]
	v_mul_f64_e32 v[40:41], v[95:96], v[40:41]
	v_fma_f64 v[58:59], v[4:5], v[0:1], v[58:59]
	v_fma_f64 v[107:108], v[6:7], v[0:1], -v[2:3]
	ds_load_b128 v[0:3], v73
	s_wait_loadcnt_dscnt 0x1
	v_mul_f64_e32 v[119:120], v[99:100], v[44:45]
	v_mul_f64_e32 v[44:45], v[97:98], v[44:45]
	v_fma_f64 v[4:5], v[52:53], v[8:9], -v[101:102]
	v_fma_f64 v[52:53], v[56:57], v[12:13], -v[103:104]
	v_fma_f64 v[6:7], v[79:80], v[16:17], -v[105:106]
	v_fma_f64 v[54:55], v[54:55], v[12:13], v[14:15]
	v_fma_f64 v[48:49], v[48:49], v[22:23], -v[109:110]
	v_fma_f64 v[12:13], v[83:84], v[26:27], -v[111:112]
	v_fma_f64 v[22:23], v[46:47], v[22:23], v[24:25]
	v_fma_f64 v[24:25], v[85:86], v[30:31], v[113:114]
	v_fma_f64 v[30:31], v[87:88], v[30:31], -v[32:33]
	v_fma_f64 v[14:15], v[81:82], v[26:27], v[28:29]
	v_fma_f64 v[26:27], v[89:90], v[34:35], v[115:116]
	v_fma_f64 v[32:33], v[91:92], v[34:35], -v[36:37]
	v_fma_f64 v[8:9], v[50:51], v[8:9], v[10:11]
	v_fma_f64 v[10:11], v[77:78], v[16:17], v[18:19]
	v_fma_f64 v[16:17], v[95:96], v[38:39], -v[117:118]
	v_fma_f64 v[18:19], v[93:94], v[38:39], v[40:41]
	global_wb scope:SCOPE_SE
	s_wait_dscnt 0x0
	s_barrier_signal -1
	s_barrier_wait -1
	global_inv scope:SCOPE_SE
	v_add_f64_e32 v[56:57], v[0:1], v[58:59]
	v_add_f64_e32 v[79:80], v[2:3], v[107:108]
	v_fma_f64 v[28:29], v[97:98], v[42:43], v[119:120]
	v_fma_f64 v[34:35], v[99:100], v[42:43], -v[44:45]
	v_add_f64_e64 v[36:37], v[107:108], -v[4:5]
	v_add_f64_e32 v[38:39], v[107:108], v[4:5]
	v_add_f64_e64 v[40:41], v[52:53], -v[6:7]
	v_add_f64_e32 v[46:47], v[52:53], v[6:7]
	;; [unrolled: 2-line block ×3, first 2 shown]
	v_add_f64_e64 v[81:82], v[22:23], -v[14:15]
	v_add_f64_e64 v[83:84], v[30:31], -v[16:17]
	v_add_f64_e32 v[95:96], v[30:31], v[16:17]
	v_add_f64_e32 v[85:86], v[24:25], v[18:19]
	v_add_f64_e64 v[97:98], v[24:25], -v[18:19]
	v_add_f64_e32 v[42:43], v[56:57], v[54:55]
	v_add_f64_e32 v[44:45], v[79:80], v[52:53]
	v_add_f64_e32 v[79:80], v[22:23], v[14:15]
	v_add_f64_e32 v[52:53], v[58:59], v[8:9]
	v_add_f64_e64 v[56:57], v[58:59], -v[8:9]
	v_mul_f64_e32 v[99:100], s[4:5], v[36:37]
	v_mul_f64_e32 v[101:102], s[18:19], v[38:39]
	;; [unrolled: 1-line block ×10, first 2 shown]
	v_add_f64_e32 v[58:59], v[54:55], v[10:11]
	v_add_f64_e64 v[54:55], v[54:55], -v[10:11]
	v_mul_f64_e32 v[115:116], s[12:13], v[40:41]
	v_mul_f64_e32 v[117:118], s[24:25], v[40:41]
	;; [unrolled: 1-line block ×11, first 2 shown]
	v_add_f64_e32 v[87:88], v[26:27], v[28:29]
	v_add_f64_e64 v[89:90], v[26:27], -v[28:29]
	v_add_f64_e32 v[91:92], v[32:33], v[34:35]
	v_add_f64_e64 v[93:94], v[32:33], -v[34:35]
	v_mul_f64_e32 v[135:136], s[26:27], v[77:78]
	v_mul_f64_e32 v[137:138], s[38:39], v[77:78]
	v_mul_f64_e32 v[139:140], s[16:17], v[77:78]
	v_mul_f64_e32 v[141:142], s[18:19], v[77:78]
	v_mul_f64_e32 v[77:78], s[34:35], v[77:78]
	v_mul_f64_e32 v[143:144], s[24:25], v[83:84]
	v_add_f64_e32 v[22:23], v[42:43], v[22:23]
	v_add_f64_e32 v[44:45], v[44:45], v[48:49]
	v_mul_f64_e32 v[42:43], s[22:23], v[40:41]
	v_mul_f64_e32 v[40:41], s[10:11], v[40:41]
	;; [unrolled: 1-line block ×4, first 2 shown]
	v_fma_f64 v[159:160], v[52:53], s[18:19], v[99:100]
	v_fma_f64 v[161:162], v[56:57], s[10:11], v[101:102]
	v_fma_f64 v[99:100], v[52:53], s[18:19], -v[99:100]
	v_fma_f64 v[101:102], v[56:57], s[4:5], v[101:102]
	v_fma_f64 v[163:164], v[52:53], s[16:17], v[103:104]
	v_fma_f64 v[165:166], v[56:57], s[14:15], v[105:106]
	v_fma_f64 v[103:104], v[52:53], s[16:17], -v[103:104]
	v_fma_f64 v[167:168], v[52:53], s[26:27], v[107:108]
	;; [unrolled: 4-line block ×4, first 2 shown]
	v_fma_f64 v[119:120], v[58:59], s[38:39], -v[119:120]
	v_fma_f64 v[181:182], v[54:55], s[28:29], v[121:122]
	v_fma_f64 v[121:122], v[54:55], s[24:25], v[121:122]
	;; [unrolled: 1-line block ×7, first 2 shown]
	v_fma_f64 v[129:130], v[79:80], s[38:39], -v[129:130]
	v_fma_f64 v[191:192], v[79:80], s[16:17], v[131:132]
	v_mul_f64_e32 v[145:146], s[22:23], v[83:84]
	v_mul_f64_e32 v[147:148], s[4:5], v[83:84]
	;; [unrolled: 1-line block ×6, first 2 shown]
	v_add_f64_e32 v[22:23], v[22:23], v[24:25]
	v_add_f64_e32 v[30:31], v[44:45], v[30:31]
	v_fma_f64 v[24:25], v[56:57], s[22:23], v[109:110]
	v_fma_f64 v[44:45], v[52:53], s[26:27], -v[107:108]
	v_fma_f64 v[107:108], v[56:57], s[20:21], v[109:110]
	v_fma_f64 v[109:110], v[52:53], s[34:35], v[111:112]
	v_fma_f64 v[111:112], v[52:53], s[34:35], -v[111:112]
	v_fma_f64 v[52:53], v[56:57], s[36:37], v[38:39]
	v_fma_f64 v[38:39], v[56:57], s[30:31], v[38:39]
	;; [unrolled: 1-line block ×3, first 2 shown]
	v_fma_f64 v[115:116], v[58:59], s[16:17], -v[115:116]
	v_fma_f64 v[177:178], v[58:59], s[26:27], v[42:43]
	v_fma_f64 v[42:43], v[58:59], s[26:27], -v[42:43]
	v_fma_f64 v[179:180], v[58:59], s[18:19], v[40:41]
	;; [unrolled: 2-line block ×3, first 2 shown]
	v_fma_f64 v[48:49], v[54:55], s[12:13], v[48:49]
	v_fma_f64 v[187:188], v[54:55], s[4:5], v[46:47]
	;; [unrolled: 1-line block ×4, first 2 shown]
	v_fma_f64 v[127:128], v[79:80], s[26:27], -v[127:128]
	v_add_f64_e32 v[99:100], v[0:1], v[99:100]
	v_add_f64_e32 v[163:164], v[0:1], v[163:164]
	v_add_f64_e32 v[165:166], v[2:3], v[165:166]
	v_add_f64_e32 v[103:104], v[0:1], v[103:104]
	v_add_f64_e32 v[167:168], v[0:1], v[167:168]
	v_add_f64_e32 v[169:170], v[2:3], v[169:170]
	v_add_f64_e32 v[171:172], v[0:1], v[171:172]
	v_add_f64_e32 v[161:162], v[2:3], v[161:162]
	v_add_f64_e32 v[105:106], v[2:3], v[105:106]
	v_add_f64_e32 v[113:114], v[2:3], v[113:114]
	v_fma_f64 v[193:194], v[81:82], s[30:31], v[137:138]
	v_mul_f64_e32 v[155:156], s[18:19], v[95:96]
	v_fma_f64 v[195:196], v[81:82], s[12:13], v[139:140]
	v_mul_f64_e32 v[157:158], s[38:39], v[95:96]
	v_mul_f64_e32 v[95:96], s[16:17], v[95:96]
	v_fma_f64 v[139:140], v[81:82], s[14:15], v[139:140]
	v_fma_f64 v[137:138], v[81:82], s[36:37], v[137:138]
	v_add_f64_e32 v[22:23], v[22:23], v[26:27]
	v_add_f64_e32 v[30:31], v[30:31], v[32:33]
	v_fma_f64 v[26:27], v[79:80], s[16:17], -v[131:132]
	v_fma_f64 v[32:33], v[79:80], s[18:19], v[133:134]
	v_add_f64_e32 v[131:132], v[0:1], v[159:160]
	v_fma_f64 v[133:134], v[79:80], s[18:19], -v[133:134]
	v_fma_f64 v[159:160], v[79:80], s[34:35], v[50:51]
	v_fma_f64 v[50:51], v[79:80], s[34:35], -v[50:51]
	v_add_f64_e32 v[79:80], v[2:3], v[101:102]
	v_add_f64_e32 v[24:25], v[2:3], v[24:25]
	;; [unrolled: 1-line block ×9, first 2 shown]
	v_fma_f64 v[101:102], v[81:82], s[22:23], v[135:136]
	v_fma_f64 v[135:136], v[81:82], s[20:21], v[135:136]
	;; [unrolled: 1-line block ×4, first 2 shown]
	v_add_f64_e32 v[99:100], v[115:116], v[99:100]
	v_add_f64_e32 v[163:164], v[173:174], v[163:164]
	;; [unrolled: 1-line block ×6, first 2 shown]
	v_fma_f64 v[141:142], v[81:82], s[28:29], v[77:78]
	v_fma_f64 v[77:78], v[81:82], s[24:25], v[77:78]
	v_add_f64_e32 v[105:106], v[121:122], v[105:106]
	v_add_f64_e32 v[58:59], v[58:59], v[161:162]
	v_mul_f64_e32 v[81:82], s[30:31], v[93:94]
	v_mul_f64_e32 v[115:116], s[38:39], v[91:92]
	;; [unrolled: 1-line block ×4, first 2 shown]
	v_fma_f64 v[117:118], v[85:86], s[34:35], v[143:144]
	v_fma_f64 v[143:144], v[85:86], s[34:35], -v[143:144]
	v_fma_f64 v[175:176], v[85:86], s[26:27], v[145:146]
	v_add_f64_e32 v[22:23], v[22:23], v[28:29]
	v_add_f64_e32 v[30:31], v[30:31], v[34:35]
	v_mul_f64_e32 v[28:29], s[10:11], v[93:94]
	v_mul_f64_e32 v[34:35], s[24:25], v[93:94]
	v_add_f64_e32 v[56:57], v[56:57], v[131:132]
	v_mul_f64_e32 v[131:132], s[14:15], v[93:94]
	v_mul_f64_e32 v[93:94], s[20:21], v[93:94]
	v_fma_f64 v[145:146], v[85:86], s[26:27], -v[145:146]
	v_add_f64_e32 v[48:49], v[48:49], v[79:80]
	v_add_f64_e32 v[24:25], v[183:184], v[24:25]
	;; [unrolled: 1-line block ×11, first 2 shown]
	v_mul_f64_e32 v[79:80], s[18:19], v[91:92]
	v_mul_f64_e32 v[91:92], s[26:27], v[91:92]
	v_fma_f64 v[183:184], v[85:86], s[18:19], v[147:148]
	v_fma_f64 v[147:148], v[85:86], s[18:19], -v[147:148]
	v_fma_f64 v[119:120], v[85:86], s[38:39], v[149:150]
	v_fma_f64 v[149:150], v[85:86], s[38:39], -v[149:150]
	v_fma_f64 v[107:108], v[97:98], s[20:21], v[153:154]
	v_fma_f64 v[121:122], v[97:98], s[10:11], v[155:156]
	v_add_f64_e32 v[103:104], v[129:130], v[103:104]
	v_add_f64_e32 v[129:130], v[191:192], v[167:168]
	v_fma_f64 v[125:126], v[97:98], s[36:37], v[157:158]
	v_add_f64_e32 v[36:37], v[36:37], v[169:170]
	v_fma_f64 v[113:114], v[97:98], s[22:23], v[153:154]
	v_fma_f64 v[153:154], v[97:98], s[12:13], v[95:96]
	;; [unrolled: 1-line block ×4, first 2 shown]
	v_add_f64_e32 v[18:19], v[22:23], v[18:19]
	v_add_f64_e32 v[16:17], v[30:31], v[16:17]
	v_fma_f64 v[22:23], v[85:86], s[16:17], v[83:84]
	v_fma_f64 v[30:31], v[85:86], s[16:17], -v[83:84]
	v_fma_f64 v[85:86], v[97:98], s[24:25], v[151:152]
	v_add_f64_e32 v[54:55], v[54:55], v[56:57]
	v_add_f64_e32 v[56:57], v[127:128], v[99:100]
	;; [unrolled: 1-line block ×13, first 2 shown]
	v_fma_f64 v[83:84], v[97:98], s[28:29], v[151:152]
	v_fma_f64 v[151:152], v[97:98], s[30:31], v[157:158]
	v_add_f64_e32 v[38:39], v[38:39], v[40:41]
	v_add_f64_e32 v[40:41], v[139:140], v[46:47]
	;; [unrolled: 1-line block ×4, first 2 shown]
	v_fma_f64 v[97:98], v[87:88], s[38:39], v[81:82]
	v_fma_f64 v[81:82], v[87:88], s[38:39], -v[81:82]
	v_fma_f64 v[155:156], v[87:88], s[18:19], v[28:29]
	v_fma_f64 v[28:29], v[87:88], s[18:19], -v[28:29]
	;; [unrolled: 2-line block ×3, first 2 shown]
	v_fma_f64 v[101:102], v[87:88], s[26:27], v[93:94]
	v_fma_f64 v[105:106], v[89:90], s[4:5], v[79:80]
	;; [unrolled: 1-line block ×7, first 2 shown]
	v_add_f64_e32 v[36:37], v[125:126], v[36:37]
	v_add_f64_e32 v[14:15], v[18:19], v[14:15]
	;; [unrolled: 1-line block ×3, first 2 shown]
	v_fma_f64 v[18:19], v[87:88], s[34:35], v[34:35]
	v_fma_f64 v[34:35], v[87:88], s[34:35], -v[34:35]
	v_fma_f64 v[87:88], v[87:88], s[26:27], -v[93:94]
	v_fma_f64 v[93:94], v[89:90], s[36:37], v[115:116]
	v_fma_f64 v[16:17], v[89:90], s[30:31], v[115:116]
	;; [unrolled: 1-line block ×4, first 2 shown]
	v_add_f64_e32 v[48:49], v[85:86], v[48:49]
	v_add_f64_e32 v[85:86], v[175:176], v[99:100]
	;; [unrolled: 1-line block ×19, first 2 shown]
	s_mov_b32 s4, exec_lo
	v_add_f64_e32 v[83:84], v[14:15], v[10:11]
	v_add_f64_e32 v[121:122], v[12:13], v[6:7]
	;; [unrolled: 1-line block ×24, first 2 shown]
	ds_store_b128 v73, v[14:17] offset:5632
	ds_store_b128 v73, v[26:29] offset:8448
	;; [unrolled: 1-line block ×10, first 2 shown]
	ds_store_b128 v73, v[6:9]
	global_wb scope:SCOPE_SE
	s_wait_dscnt 0x0
	s_barrier_signal -1
	s_barrier_wait -1
	global_inv scope:SCOPE_SE
	ds_load_b128 v[4:7], v73
	v_sub_nc_u32_e32 v10, 0, v63
                                        ; implicit-def: $vgpr2_vgpr3
                                        ; implicit-def: $vgpr8_vgpr9
	v_cmpx_ne_u32_e32 0, v62
	s_wait_alu 0xfffe
	s_xor_b32 s4, exec_lo, s4
	s_cbranch_execz .LBB0_25
; %bb.24:
	v_mov_b32_e32 v63, 0
	s_delay_alu instid0(VALU_DEP_1) | instskip(NEXT) | instid1(VALU_DEP_1)
	v_lshlrev_b64_e32 v[0:1], 4, v[62:63]
	v_add_co_u32 v0, s1, s8, v0
	s_wait_alu 0xf1ff
	s_delay_alu instid0(VALU_DEP_2)
	v_add_co_ci_u32_e64 v1, s1, s9, v1, s1
	global_load_b128 v[11:14], v[0:1], off offset:30944
	ds_load_b128 v[0:3], v10 offset:30976
	s_wait_dscnt 0x0
	v_add_f64_e64 v[8:9], v[4:5], -v[0:1]
	v_add_f64_e32 v[15:16], v[6:7], v[2:3]
	v_add_f64_e64 v[2:3], v[6:7], -v[2:3]
	v_add_f64_e32 v[0:1], v[4:5], v[0:1]
	s_delay_alu instid0(VALU_DEP_4) | instskip(NEXT) | instid1(VALU_DEP_4)
	v_mul_f64_e32 v[6:7], 0.5, v[8:9]
	v_mul_f64_e32 v[4:5], 0.5, v[15:16]
	s_delay_alu instid0(VALU_DEP_4) | instskip(SKIP_1) | instid1(VALU_DEP_3)
	v_mul_f64_e32 v[2:3], 0.5, v[2:3]
	s_wait_loadcnt 0x0
	v_mul_f64_e32 v[8:9], v[6:7], v[13:14]
	s_delay_alu instid0(VALU_DEP_2) | instskip(SKIP_1) | instid1(VALU_DEP_3)
	v_fma_f64 v[15:16], v[4:5], v[13:14], v[2:3]
	v_fma_f64 v[2:3], v[4:5], v[13:14], -v[2:3]
	v_fma_f64 v[17:18], v[0:1], 0.5, v[8:9]
	v_fma_f64 v[0:1], v[0:1], 0.5, -v[8:9]
	s_delay_alu instid0(VALU_DEP_4) | instskip(NEXT) | instid1(VALU_DEP_4)
	v_fma_f64 v[8:9], -v[11:12], v[6:7], v[15:16]
	v_fma_f64 v[2:3], -v[11:12], v[6:7], v[2:3]
	s_delay_alu instid0(VALU_DEP_4) | instskip(NEXT) | instid1(VALU_DEP_4)
	v_fma_f64 v[13:14], v[4:5], v[11:12], v[17:18]
	v_fma_f64 v[0:1], -v[4:5], v[11:12], v[0:1]
                                        ; implicit-def: $vgpr4_vgpr5
	ds_store_b64 v73, v[13:14]
.LBB0_25:
	s_wait_alu 0xfffe
	s_and_not1_saveexec_b32 s1, s4
	s_cbranch_execz .LBB0_27
; %bb.26:
	s_wait_dscnt 0x0
	v_add_f64_e32 v[11:12], v[4:5], v[6:7]
	v_add_f64_e64 v[0:1], v[4:5], -v[6:7]
	v_mov_b32_e32 v6, 0
	v_mov_b32_e32 v8, 0
	;; [unrolled: 1-line block ×3, first 2 shown]
	s_delay_alu instid0(VALU_DEP_2)
	v_mov_b32_e32 v2, v8
	ds_load_b64 v[4:5], v6 offset:15496
	v_mov_b32_e32 v3, v9
	s_wait_dscnt 0x0
	v_xor_b32_e32 v5, 0x80000000, v5
	ds_store_b64 v73, v[11:12]
	ds_store_b64 v6, v[4:5] offset:15496
.LBB0_27:
	s_wait_alu 0xfffe
	s_or_b32 exec_lo, exec_lo, s1
	v_mov_b32_e32 v68, 0
	s_wait_dscnt 0x0
	s_delay_alu instid0(VALU_DEP_1) | instskip(SKIP_1) | instid1(VALU_DEP_1)
	v_lshlrev_b64_e32 v[4:5], 4, v[67:68]
	v_mov_b32_e32 v72, v68
	v_lshlrev_b64_e32 v[11:12], 4, v[71:72]
	v_mov_b32_e32 v71, v68
	s_delay_alu instid0(VALU_DEP_4) | instskip(SKIP_2) | instid1(VALU_DEP_4)
	v_add_co_u32 v4, s1, s8, v4
	s_wait_alu 0xf1ff
	v_add_co_ci_u32_e64 v5, s1, s9, v5, s1
	v_add_co_u32 v11, s1, s8, v11
	s_wait_alu 0xf1ff
	v_add_co_ci_u32_e64 v12, s1, s9, v12, s1
	s_clause 0x1
	global_load_b128 v[4:7], v[4:5], off offset:30944
	global_load_b128 v[11:14], v[11:12], off offset:30944
	ds_store_b64 v73, v[8:9] offset:8
	ds_store_b128 v10, v[0:3] offset:30976
	ds_load_b128 v[0:3], v76
	ds_load_b128 v[15:18], v10 offset:28160
	s_wait_dscnt 0x0
	v_add_f64_e64 v[8:9], v[0:1], -v[15:16]
	v_add_f64_e32 v[22:23], v[2:3], v[17:18]
	v_add_f64_e64 v[2:3], v[2:3], -v[17:18]
	v_add_f64_e32 v[0:1], v[0:1], v[15:16]
	s_delay_alu instid0(VALU_DEP_4) | instskip(NEXT) | instid1(VALU_DEP_4)
	v_mul_f64_e32 v[8:9], 0.5, v[8:9]
	v_mul_f64_e32 v[17:18], 0.5, v[22:23]
	s_delay_alu instid0(VALU_DEP_4) | instskip(SKIP_1) | instid1(VALU_DEP_3)
	v_mul_f64_e32 v[2:3], 0.5, v[2:3]
	s_wait_loadcnt 0x1
	v_mul_f64_e32 v[15:16], v[8:9], v[6:7]
	s_delay_alu instid0(VALU_DEP_2) | instskip(SKIP_1) | instid1(VALU_DEP_3)
	v_fma_f64 v[22:23], v[17:18], v[6:7], v[2:3]
	v_fma_f64 v[6:7], v[17:18], v[6:7], -v[2:3]
	v_fma_f64 v[24:25], v[0:1], 0.5, v[15:16]
	v_fma_f64 v[15:16], v[0:1], 0.5, -v[15:16]
	s_delay_alu instid0(VALU_DEP_4) | instskip(NEXT) | instid1(VALU_DEP_4)
	v_fma_f64 v[2:3], -v[4:5], v[8:9], v[22:23]
	v_fma_f64 v[6:7], -v[4:5], v[8:9], v[6:7]
	v_lshlrev_b64_e32 v[8:9], 4, v[70:71]
	v_mov_b32_e32 v70, v68
	s_delay_alu instid0(VALU_DEP_2) | instskip(SKIP_1) | instid1(VALU_DEP_3)
	v_add_co_u32 v8, s1, s8, v8
	s_wait_alu 0xf1ff
	v_add_co_ci_u32_e64 v9, s1, s9, v9, s1
	v_fma_f64 v[0:1], v[17:18], v[4:5], v[24:25]
	v_fma_f64 v[4:5], -v[17:18], v[4:5], v[15:16]
	global_load_b128 v[15:18], v[8:9], off offset:30944
	ds_store_b128 v76, v[0:3]
	ds_store_b128 v10, v[4:7] offset:28160
	ds_load_b128 v[0:3], v75
	ds_load_b128 v[4:7], v10 offset:25344
	s_wait_dscnt 0x0
	v_add_f64_e64 v[8:9], v[0:1], -v[4:5]
	v_add_f64_e32 v[22:23], v[2:3], v[6:7]
	v_add_f64_e64 v[2:3], v[2:3], -v[6:7]
	v_add_f64_e32 v[0:1], v[0:1], v[4:5]
	s_delay_alu instid0(VALU_DEP_4) | instskip(NEXT) | instid1(VALU_DEP_4)
	v_mul_f64_e32 v[6:7], 0.5, v[8:9]
	v_mul_f64_e32 v[8:9], 0.5, v[22:23]
	s_delay_alu instid0(VALU_DEP_4) | instskip(SKIP_1) | instid1(VALU_DEP_3)
	v_mul_f64_e32 v[2:3], 0.5, v[2:3]
	s_wait_loadcnt 0x1
	v_mul_f64_e32 v[4:5], v[6:7], v[13:14]
	s_delay_alu instid0(VALU_DEP_2) | instskip(SKIP_1) | instid1(VALU_DEP_3)
	v_fma_f64 v[22:23], v[8:9], v[13:14], v[2:3]
	v_fma_f64 v[13:14], v[8:9], v[13:14], -v[2:3]
	v_fma_f64 v[24:25], v[0:1], 0.5, v[4:5]
	v_fma_f64 v[4:5], v[0:1], 0.5, -v[4:5]
	s_delay_alu instid0(VALU_DEP_4) | instskip(NEXT) | instid1(VALU_DEP_4)
	v_fma_f64 v[2:3], -v[11:12], v[6:7], v[22:23]
	v_fma_f64 v[6:7], -v[11:12], v[6:7], v[13:14]
	s_delay_alu instid0(VALU_DEP_4) | instskip(NEXT) | instid1(VALU_DEP_4)
	v_fma_f64 v[0:1], v[8:9], v[11:12], v[24:25]
	v_fma_f64 v[4:5], -v[8:9], v[11:12], v[4:5]
	v_lshlrev_b64_e32 v[8:9], 4, v[69:70]
	s_delay_alu instid0(VALU_DEP_1) | instskip(SKIP_1) | instid1(VALU_DEP_2)
	v_add_co_u32 v8, s1, s8, v8
	s_wait_alu 0xf1ff
	v_add_co_ci_u32_e64 v9, s1, s9, v9, s1
	global_load_b128 v[11:14], v[8:9], off offset:30944
	ds_store_b128 v75, v[0:3]
	ds_store_b128 v10, v[4:7] offset:25344
	ds_load_b128 v[0:3], v21
	ds_load_b128 v[4:7], v10 offset:22528
	s_wait_dscnt 0x0
	v_add_f64_e64 v[8:9], v[0:1], -v[4:5]
	v_add_f64_e32 v[22:23], v[2:3], v[6:7]
	v_add_f64_e64 v[2:3], v[2:3], -v[6:7]
	v_add_f64_e32 v[0:1], v[0:1], v[4:5]
	s_delay_alu instid0(VALU_DEP_4) | instskip(NEXT) | instid1(VALU_DEP_4)
	v_mul_f64_e32 v[6:7], 0.5, v[8:9]
	v_mul_f64_e32 v[8:9], 0.5, v[22:23]
	s_delay_alu instid0(VALU_DEP_4) | instskip(SKIP_1) | instid1(VALU_DEP_3)
	v_mul_f64_e32 v[2:3], 0.5, v[2:3]
	s_wait_loadcnt 0x1
	v_mul_f64_e32 v[4:5], v[6:7], v[17:18]
	s_delay_alu instid0(VALU_DEP_2) | instskip(SKIP_1) | instid1(VALU_DEP_3)
	v_fma_f64 v[22:23], v[8:9], v[17:18], v[2:3]
	v_fma_f64 v[17:18], v[8:9], v[17:18], -v[2:3]
	v_fma_f64 v[24:25], v[0:1], 0.5, v[4:5]
	v_fma_f64 v[4:5], v[0:1], 0.5, -v[4:5]
	s_delay_alu instid0(VALU_DEP_4) | instskip(NEXT) | instid1(VALU_DEP_4)
	v_fma_f64 v[2:3], -v[15:16], v[6:7], v[22:23]
	v_fma_f64 v[6:7], -v[15:16], v[6:7], v[17:18]
	s_delay_alu instid0(VALU_DEP_4) | instskip(NEXT) | instid1(VALU_DEP_4)
	v_fma_f64 v[0:1], v[8:9], v[15:16], v[24:25]
	v_fma_f64 v[4:5], -v[8:9], v[15:16], v[4:5]
	ds_store_b128 v21, v[0:3]
	ds_store_b128 v10, v[4:7] offset:22528
	ds_load_b128 v[0:3], v20
	ds_load_b128 v[4:7], v10 offset:19712
	s_wait_dscnt 0x0
	v_add_f64_e64 v[8:9], v[0:1], -v[4:5]
	v_add_f64_e32 v[15:16], v[2:3], v[6:7]
	v_add_f64_e64 v[2:3], v[2:3], -v[6:7]
	v_add_f64_e32 v[0:1], v[0:1], v[4:5]
	s_delay_alu instid0(VALU_DEP_4) | instskip(NEXT) | instid1(VALU_DEP_4)
	v_mul_f64_e32 v[6:7], 0.5, v[8:9]
	v_mul_f64_e32 v[8:9], 0.5, v[15:16]
	s_delay_alu instid0(VALU_DEP_4) | instskip(SKIP_1) | instid1(VALU_DEP_3)
	v_mul_f64_e32 v[2:3], 0.5, v[2:3]
	s_wait_loadcnt 0x0
	v_mul_f64_e32 v[4:5], v[6:7], v[13:14]
	s_delay_alu instid0(VALU_DEP_2) | instskip(SKIP_1) | instid1(VALU_DEP_3)
	v_fma_f64 v[15:16], v[8:9], v[13:14], v[2:3]
	v_fma_f64 v[13:14], v[8:9], v[13:14], -v[2:3]
	v_fma_f64 v[17:18], v[0:1], 0.5, v[4:5]
	v_fma_f64 v[4:5], v[0:1], 0.5, -v[4:5]
	s_delay_alu instid0(VALU_DEP_4) | instskip(NEXT) | instid1(VALU_DEP_4)
	v_fma_f64 v[2:3], -v[11:12], v[6:7], v[15:16]
	v_fma_f64 v[6:7], -v[11:12], v[6:7], v[13:14]
	s_delay_alu instid0(VALU_DEP_4) | instskip(NEXT) | instid1(VALU_DEP_4)
	v_fma_f64 v[0:1], v[8:9], v[11:12], v[17:18]
	v_fma_f64 v[4:5], -v[8:9], v[11:12], v[4:5]
	ds_store_b128 v20, v[0:3]
	ds_store_b128 v10, v[4:7] offset:19712
	s_and_saveexec_b32 s1, s0
	s_cbranch_execz .LBB0_29
; %bb.28:
	v_mov_b32_e32 v67, v68
	s_delay_alu instid0(VALU_DEP_1) | instskip(NEXT) | instid1(VALU_DEP_1)
	v_lshlrev_b64_e32 v[0:1], 4, v[66:67]
	v_add_co_u32 v0, s0, s8, v0
	s_wait_alu 0xf1ff
	s_delay_alu instid0(VALU_DEP_2)
	v_add_co_ci_u32_e64 v1, s0, s9, v1, s0
	global_load_b128 v[0:3], v[0:1], off offset:30944
	ds_load_b128 v[4:7], v74
	ds_load_b128 v[11:14], v10 offset:16896
	s_wait_dscnt 0x0
	v_add_f64_e64 v[8:9], v[4:5], -v[11:12]
	v_add_f64_e32 v[15:16], v[6:7], v[13:14]
	v_add_f64_e64 v[6:7], v[6:7], -v[13:14]
	v_add_f64_e32 v[4:5], v[4:5], v[11:12]
	s_delay_alu instid0(VALU_DEP_4) | instskip(NEXT) | instid1(VALU_DEP_4)
	v_mul_f64_e32 v[8:9], 0.5, v[8:9]
	v_mul_f64_e32 v[13:14], 0.5, v[15:16]
	s_delay_alu instid0(VALU_DEP_4) | instskip(SKIP_1) | instid1(VALU_DEP_3)
	v_mul_f64_e32 v[6:7], 0.5, v[6:7]
	s_wait_loadcnt 0x0
	v_mul_f64_e32 v[11:12], v[8:9], v[2:3]
	s_delay_alu instid0(VALU_DEP_2) | instskip(SKIP_1) | instid1(VALU_DEP_3)
	v_fma_f64 v[15:16], v[13:14], v[2:3], v[6:7]
	v_fma_f64 v[2:3], v[13:14], v[2:3], -v[6:7]
	v_fma_f64 v[6:7], v[4:5], 0.5, v[11:12]
	v_fma_f64 v[11:12], v[4:5], 0.5, -v[11:12]
	s_delay_alu instid0(VALU_DEP_4) | instskip(NEXT) | instid1(VALU_DEP_4)
	v_fma_f64 v[4:5], -v[0:1], v[8:9], v[15:16]
	v_fma_f64 v[8:9], -v[0:1], v[8:9], v[2:3]
	s_delay_alu instid0(VALU_DEP_4) | instskip(NEXT) | instid1(VALU_DEP_4)
	v_fma_f64 v[2:3], v[13:14], v[0:1], v[6:7]
	v_fma_f64 v[6:7], -v[13:14], v[0:1], v[11:12]
	ds_store_b128 v74, v[2:5]
	ds_store_b128 v10, v[6:9] offset:16896
.LBB0_29:
	s_wait_alu 0xfffe
	s_or_b32 exec_lo, exec_lo, s1
	global_wb scope:SCOPE_SE
	s_wait_dscnt 0x0
	s_barrier_signal -1
	s_barrier_wait -1
	global_inv scope:SCOPE_SE
	s_and_saveexec_b32 s0, vcc_lo
	s_cbranch_execz .LBB0_32
; %bb.30:
	v_mul_lo_u32 v2, s3, v64
	v_mul_lo_u32 v3, s2, v65
	v_mad_co_u64_u32 v[0:1], null, s2, v64, 0
	v_lshl_add_u32 v31, v62, 4, 0
	v_dual_mov_b32 v63, 0 :: v_dual_add_nc_u32 v12, 0xb0, v62
	v_lshlrev_b64_e32 v[10:11], 4, v[60:61]
	v_add_nc_u32_e32 v26, 0x420, v62
	v_add_nc_u32_e32 v24, 0x370, v62
	v_add3_u32 v1, v1, v3, v2
	ds_load_b128 v[2:5], v31
	ds_load_b128 v[6:9], v31 offset:2816
	v_mov_b32_e32 v13, v63
	v_lshlrev_b64_e32 v[14:15], 4, v[62:63]
	v_mov_b32_e32 v25, v63
	v_lshlrev_b64_e32 v[0:1], 4, v[0:1]
	v_dual_mov_b32 v27, v63 :: v_dual_add_nc_u32 v30, 0x6e0, v62
	s_delay_alu instid0(VALU_DEP_3) | instskip(NEXT) | instid1(VALU_DEP_3)
	v_lshlrev_b64_e32 v[24:25], 4, v[24:25]
	v_add_co_u32 v0, vcc_lo, s6, v0
	s_wait_alu 0xfffd
	s_delay_alu instid0(VALU_DEP_4) | instskip(NEXT) | instid1(VALU_DEP_2)
	v_add_co_ci_u32_e32 v1, vcc_lo, s7, v1, vcc_lo
	v_add_co_u32 v0, vcc_lo, v0, v10
	s_wait_alu 0xfffd
	s_delay_alu instid0(VALU_DEP_2) | instskip(SKIP_1) | instid1(VALU_DEP_3)
	v_add_co_ci_u32_e32 v1, vcc_lo, v1, v11, vcc_lo
	v_lshlrev_b64_e32 v[10:11], 4, v[12:13]
	v_add_co_u32 v12, vcc_lo, v0, v14
	s_wait_alu 0xfffd
	s_delay_alu instid0(VALU_DEP_3) | instskip(SKIP_1) | instid1(VALU_DEP_4)
	v_add_co_ci_u32_e32 v13, vcc_lo, v1, v15, vcc_lo
	v_add_nc_u32_e32 v14, 0x160, v62
	v_add_co_u32 v10, vcc_lo, v0, v10
	v_mov_b32_e32 v15, v63
	s_wait_alu 0xfffd
	v_add_co_ci_u32_e32 v11, vcc_lo, v1, v11, vcc_lo
	s_wait_dscnt 0x1
	global_store_b128 v[12:13], v[2:5], off
	s_wait_dscnt 0x0
	global_store_b128 v[10:11], v[6:9], off
	v_add_nc_u32_e32 v10, 0x210, v62
	v_lshlrev_b64_e32 v[2:3], 4, v[14:15]
	v_dual_mov_b32 v11, v63 :: v_dual_add_nc_u32 v12, 0x2c0, v62
	v_mov_b32_e32 v13, v63
	s_delay_alu instid0(VALU_DEP_3) | instskip(SKIP_1) | instid1(VALU_DEP_4)
	v_add_co_u32 v18, vcc_lo, v0, v2
	s_wait_alu 0xfffd
	v_add_co_ci_u32_e32 v19, vcc_lo, v1, v3, vcc_lo
	ds_load_b128 v[2:5], v31 offset:5632
	ds_load_b128 v[6:9], v31 offset:8448
	v_lshlrev_b64_e32 v[20:21], 4, v[10:11]
	v_lshlrev_b64_e32 v[22:23], 4, v[12:13]
	ds_load_b128 v[10:13], v31 offset:11264
	ds_load_b128 v[14:17], v31 offset:14080
	v_add_co_u32 v20, vcc_lo, v0, v20
	s_wait_alu 0xfffd
	v_add_co_ci_u32_e32 v21, vcc_lo, v1, v21, vcc_lo
	v_add_co_u32 v22, vcc_lo, v0, v22
	s_wait_alu 0xfffd
	v_add_co_ci_u32_e32 v23, vcc_lo, v1, v23, vcc_lo
	;; [unrolled: 3-line block ×3, first 2 shown]
	s_wait_dscnt 0x3
	global_store_b128 v[18:19], v[2:5], off
	s_wait_dscnt 0x2
	global_store_b128 v[20:21], v[6:9], off
	;; [unrolled: 2-line block ×4, first 2 shown]
	v_dual_mov_b32 v11, v63 :: v_dual_add_nc_u32 v10, 0x4d0, v62
	v_add_nc_u32_e32 v12, 0x580, v62
	v_lshlrev_b64_e32 v[2:3], 4, v[26:27]
	v_dual_mov_b32 v13, v63 :: v_dual_add_nc_u32 v18, 0x630, v62
	s_delay_alu instid0(VALU_DEP_4) | instskip(SKIP_1) | instid1(VALU_DEP_4)
	v_lshlrev_b64_e32 v[10:11], 4, v[10:11]
	v_mov_b32_e32 v19, v63
	v_add_co_u32 v22, vcc_lo, v0, v2
	s_wait_alu 0xfffd
	v_add_co_ci_u32_e32 v23, vcc_lo, v1, v3, vcc_lo
	s_delay_alu instid0(VALU_DEP_4)
	v_add_co_u32 v24, vcc_lo, v0, v10
	ds_load_b128 v[2:5], v31 offset:16896
	ds_load_b128 v[6:9], v31 offset:19712
	s_wait_alu 0xfffd
	v_add_co_ci_u32_e32 v25, vcc_lo, v1, v11, vcc_lo
	v_lshlrev_b64_e32 v[26:27], 4, v[12:13]
	ds_load_b128 v[10:13], v31 offset:22528
	ds_load_b128 v[14:17], v31 offset:25344
	v_lshlrev_b64_e32 v[28:29], 4, v[18:19]
	ds_load_b128 v[18:21], v31 offset:28160
	v_mov_b32_e32 v31, v63
	v_add_co_u32 v26, vcc_lo, v0, v26
	s_wait_alu 0xfffd
	v_add_co_ci_u32_e32 v27, vcc_lo, v1, v27, vcc_lo
	s_delay_alu instid0(VALU_DEP_3) | instskip(SKIP_3) | instid1(VALU_DEP_3)
	v_lshlrev_b64_e32 v[30:31], 4, v[30:31]
	v_add_co_u32 v28, vcc_lo, v0, v28
	s_wait_alu 0xfffd
	v_add_co_ci_u32_e32 v29, vcc_lo, v1, v29, vcc_lo
	v_add_co_u32 v30, vcc_lo, v0, v30
	s_wait_alu 0xfffd
	v_add_co_ci_u32_e32 v31, vcc_lo, v1, v31, vcc_lo
	v_cmp_eq_u32_e32 vcc_lo, 0xaf, v62
	s_wait_dscnt 0x4
	global_store_b128 v[22:23], v[2:5], off
	s_wait_dscnt 0x3
	global_store_b128 v[24:25], v[6:9], off
	;; [unrolled: 2-line block ×5, first 2 shown]
	s_and_b32 exec_lo, exec_lo, vcc_lo
	s_cbranch_execz .LBB0_32
; %bb.31:
	ds_load_b128 v[2:5], v63 offset:30976
	s_wait_dscnt 0x0
	global_store_b128 v[0:1], v[2:5], off offset:30976
.LBB0_32:
	s_nop 0
	s_sendmsg sendmsg(MSG_DEALLOC_VGPRS)
	s_endpgm
	.section	.rodata,"a",@progbits
	.p2align	6, 0x0
	.amdhsa_kernel fft_rtc_back_len1936_factors_2_2_4_11_11_wgs_176_tpt_176_dp_op_CI_CI_unitstride_sbrr_R2C_dirReg
		.amdhsa_group_segment_fixed_size 0
		.amdhsa_private_segment_fixed_size 0
		.amdhsa_kernarg_size 104
		.amdhsa_user_sgpr_count 2
		.amdhsa_user_sgpr_dispatch_ptr 0
		.amdhsa_user_sgpr_queue_ptr 0
		.amdhsa_user_sgpr_kernarg_segment_ptr 1
		.amdhsa_user_sgpr_dispatch_id 0
		.amdhsa_user_sgpr_private_segment_size 0
		.amdhsa_wavefront_size32 1
		.amdhsa_uses_dynamic_stack 0
		.amdhsa_enable_private_segment 0
		.amdhsa_system_sgpr_workgroup_id_x 1
		.amdhsa_system_sgpr_workgroup_id_y 0
		.amdhsa_system_sgpr_workgroup_id_z 0
		.amdhsa_system_sgpr_workgroup_info 0
		.amdhsa_system_vgpr_workitem_id 0
		.amdhsa_next_free_vgpr 199
		.amdhsa_next_free_sgpr 40
		.amdhsa_reserve_vcc 1
		.amdhsa_float_round_mode_32 0
		.amdhsa_float_round_mode_16_64 0
		.amdhsa_float_denorm_mode_32 3
		.amdhsa_float_denorm_mode_16_64 3
		.amdhsa_fp16_overflow 0
		.amdhsa_workgroup_processor_mode 1
		.amdhsa_memory_ordered 1
		.amdhsa_forward_progress 0
		.amdhsa_round_robin_scheduling 0
		.amdhsa_exception_fp_ieee_invalid_op 0
		.amdhsa_exception_fp_denorm_src 0
		.amdhsa_exception_fp_ieee_div_zero 0
		.amdhsa_exception_fp_ieee_overflow 0
		.amdhsa_exception_fp_ieee_underflow 0
		.amdhsa_exception_fp_ieee_inexact 0
		.amdhsa_exception_int_div_zero 0
	.end_amdhsa_kernel
	.text
.Lfunc_end0:
	.size	fft_rtc_back_len1936_factors_2_2_4_11_11_wgs_176_tpt_176_dp_op_CI_CI_unitstride_sbrr_R2C_dirReg, .Lfunc_end0-fft_rtc_back_len1936_factors_2_2_4_11_11_wgs_176_tpt_176_dp_op_CI_CI_unitstride_sbrr_R2C_dirReg
                                        ; -- End function
	.section	.AMDGPU.csdata,"",@progbits
; Kernel info:
; codeLenInByte = 11360
; NumSgprs: 42
; NumVgprs: 199
; ScratchSize: 0
; MemoryBound: 0
; FloatMode: 240
; IeeeMode: 1
; LDSByteSize: 0 bytes/workgroup (compile time only)
; SGPRBlocks: 5
; VGPRBlocks: 24
; NumSGPRsForWavesPerEU: 42
; NumVGPRsForWavesPerEU: 199
; Occupancy: 7
; WaveLimiterHint : 1
; COMPUTE_PGM_RSRC2:SCRATCH_EN: 0
; COMPUTE_PGM_RSRC2:USER_SGPR: 2
; COMPUTE_PGM_RSRC2:TRAP_HANDLER: 0
; COMPUTE_PGM_RSRC2:TGID_X_EN: 1
; COMPUTE_PGM_RSRC2:TGID_Y_EN: 0
; COMPUTE_PGM_RSRC2:TGID_Z_EN: 0
; COMPUTE_PGM_RSRC2:TIDIG_COMP_CNT: 0
	.text
	.p2alignl 7, 3214868480
	.fill 96, 4, 3214868480
	.type	__hip_cuid_f258999776bf2dd3,@object ; @__hip_cuid_f258999776bf2dd3
	.section	.bss,"aw",@nobits
	.globl	__hip_cuid_f258999776bf2dd3
__hip_cuid_f258999776bf2dd3:
	.byte	0                               ; 0x0
	.size	__hip_cuid_f258999776bf2dd3, 1

	.ident	"AMD clang version 19.0.0git (https://github.com/RadeonOpenCompute/llvm-project roc-6.4.0 25133 c7fe45cf4b819c5991fe208aaa96edf142730f1d)"
	.section	".note.GNU-stack","",@progbits
	.addrsig
	.addrsig_sym __hip_cuid_f258999776bf2dd3
	.amdgpu_metadata
---
amdhsa.kernels:
  - .args:
      - .actual_access:  read_only
        .address_space:  global
        .offset:         0
        .size:           8
        .value_kind:     global_buffer
      - .offset:         8
        .size:           8
        .value_kind:     by_value
      - .actual_access:  read_only
        .address_space:  global
        .offset:         16
        .size:           8
        .value_kind:     global_buffer
      - .actual_access:  read_only
        .address_space:  global
        .offset:         24
        .size:           8
        .value_kind:     global_buffer
      - .actual_access:  read_only
        .address_space:  global
        .offset:         32
        .size:           8
        .value_kind:     global_buffer
      - .offset:         40
        .size:           8
        .value_kind:     by_value
      - .actual_access:  read_only
        .address_space:  global
        .offset:         48
        .size:           8
        .value_kind:     global_buffer
      - .actual_access:  read_only
        .address_space:  global
        .offset:         56
        .size:           8
        .value_kind:     global_buffer
      - .offset:         64
        .size:           4
        .value_kind:     by_value
      - .actual_access:  read_only
        .address_space:  global
        .offset:         72
        .size:           8
        .value_kind:     global_buffer
      - .actual_access:  read_only
        .address_space:  global
        .offset:         80
        .size:           8
        .value_kind:     global_buffer
      - .actual_access:  read_only
        .address_space:  global
        .offset:         88
        .size:           8
        .value_kind:     global_buffer
      - .actual_access:  write_only
        .address_space:  global
        .offset:         96
        .size:           8
        .value_kind:     global_buffer
    .group_segment_fixed_size: 0
    .kernarg_segment_align: 8
    .kernarg_segment_size: 104
    .language:       OpenCL C
    .language_version:
      - 2
      - 0
    .max_flat_workgroup_size: 176
    .name:           fft_rtc_back_len1936_factors_2_2_4_11_11_wgs_176_tpt_176_dp_op_CI_CI_unitstride_sbrr_R2C_dirReg
    .private_segment_fixed_size: 0
    .sgpr_count:     42
    .sgpr_spill_count: 0
    .symbol:         fft_rtc_back_len1936_factors_2_2_4_11_11_wgs_176_tpt_176_dp_op_CI_CI_unitstride_sbrr_R2C_dirReg.kd
    .uniform_work_group_size: 1
    .uses_dynamic_stack: false
    .vgpr_count:     199
    .vgpr_spill_count: 0
    .wavefront_size: 32
    .workgroup_processor_mode: 1
amdhsa.target:   amdgcn-amd-amdhsa--gfx1201
amdhsa.version:
  - 1
  - 2
...

	.end_amdgpu_metadata
